;; amdgpu-corpus repo=ROCm/rocFFT kind=compiled arch=gfx906 opt=O3
	.text
	.amdgcn_target "amdgcn-amd-amdhsa--gfx906"
	.amdhsa_code_object_version 6
	.protected	bluestein_single_fwd_len540_dim1_sp_op_CI_CI ; -- Begin function bluestein_single_fwd_len540_dim1_sp_op_CI_CI
	.globl	bluestein_single_fwd_len540_dim1_sp_op_CI_CI
	.p2align	8
	.type	bluestein_single_fwd_len540_dim1_sp_op_CI_CI,@function
bluestein_single_fwd_len540_dim1_sp_op_CI_CI: ; @bluestein_single_fwd_len540_dim1_sp_op_CI_CI
; %bb.0:
	s_load_dwordx4 s[12:15], s[4:5], 0x28
	v_mul_u32_u24_e32 v1, 0x4be, v0
	v_lshrrev_b32_e32 v2, 16, v1
	v_lshl_add_u32 v84, s6, 2, v2
	v_mov_b32_e32 v85, 0
	s_waitcnt lgkmcnt(0)
	v_cmp_gt_u64_e32 vcc, s[12:13], v[84:85]
	s_and_saveexec_b64 s[0:1], vcc
	s_cbranch_execz .LBB0_31
; %bb.1:
	s_load_dwordx4 s[0:3], s[4:5], 0x18
	s_load_dwordx2 s[16:17], s[4:5], 0x0
	v_mul_lo_u16_e32 v1, 54, v2
	v_sub_u16_e32 v100, v0, v1
	v_lshlrev_b32_e32 v109, 3, v100
	s_waitcnt lgkmcnt(0)
	s_load_dwordx4 s[8:11], s[0:1], 0x0
	global_load_dwordx2 v[91:92], v109, s[16:17]
	v_add_co_u32_e64 v72, s[6:7], s16, v109
	s_load_dwordx2 s[12:13], s[4:5], 0x38
	s_waitcnt lgkmcnt(0)
	v_mad_u64_u32 v[0:1], s[0:1], s10, v84, 0
	v_mad_u64_u32 v[3:4], s[0:1], s8, v100, 0
	v_mad_u64_u32 v[5:6], s[0:1], s11, v84, v[1:2]
	v_and_b32_e32 v2, 3, v2
	v_mul_u32_u24_e32 v111, 0x21c, v2
	v_mad_u64_u32 v[6:7], s[0:1], s9, v100, v[4:5]
	v_mov_b32_e32 v1, v5
	v_lshlrev_b64 v[0:1], 3, v[0:1]
	v_mov_b32_e32 v7, s15
	v_mov_b32_e32 v4, v6
	v_add_co_u32_e32 v5, vcc, s14, v0
	v_addc_co_u32_e32 v6, vcc, v7, v1, vcc
	v_lshlrev_b64 v[0:1], 3, v[3:4]
	s_mul_i32 s0, s9, 0xb4
	s_mul_hi_u32 s1, s8, 0xb4
	v_add_co_u32_e32 v0, vcc, v5, v0
	s_add_i32 s1, s1, s0
	s_mul_i32 s0, s8, 0xb4
	v_addc_co_u32_e32 v1, vcc, v6, v1, vcc
	s_lshl_b64 s[14:15], s[0:1], 3
	v_mov_b32_e32 v19, s15
	v_add_co_u32_e32 v3, vcc, s14, v0
	s_mul_hi_u32 s1, s8, 0xfffffece
	v_addc_co_u32_e32 v4, vcc, v1, v19, vcc
	s_mul_i32 s0, s9, 0xfffffece
	s_sub_i32 s1, s1, s8
	global_load_dwordx2 v[5:6], v[0:1], off
	global_load_dwordx2 v[7:8], v[3:4], off
	global_load_dwordx2 v[89:90], v109, s[16:17] offset:1440
	v_add_co_u32_e32 v0, vcc, s14, v3
	s_add_i32 s1, s1, s0
	s_mul_i32 s0, s8, 0xfffffece
	v_addc_co_u32_e32 v1, vcc, v4, v19, vcc
	s_lshl_b64 s[18:19], s[0:1], 3
	v_mov_b32_e32 v15, s19
	v_add_co_u32_e32 v3, vcc, s18, v0
	v_addc_co_u32_e32 v4, vcc, v1, v15, vcc
	global_load_dwordx2 v[85:86], v109, s[16:17] offset:2880
	global_load_dwordx2 v[9:10], v[0:1], off
	global_load_dwordx2 v[11:12], v[3:4], off
	global_load_dwordx2 v[87:88], v109, s[16:17] offset:432
	v_add_co_u32_e32 v0, vcc, s14, v3
	v_addc_co_u32_e32 v1, vcc, v4, v19, vcc
	global_load_dwordx2 v[3:4], v[0:1], off
	global_load_dwordx2 v[82:83], v109, s[16:17] offset:1872
	v_add_co_u32_e32 v0, vcc, s14, v0
	v_addc_co_u32_e32 v1, vcc, v1, v19, vcc
	global_load_dwordx2 v[13:14], v[0:1], off
	global_load_dwordx2 v[80:81], v109, s[16:17] offset:3312
	v_add_co_u32_e32 v0, vcc, s18, v0
	v_addc_co_u32_e32 v1, vcc, v1, v15, vcc
	global_load_dwordx2 v[15:16], v[0:1], off
	global_load_dwordx2 v[78:79], v109, s[16:17] offset:864
	v_add_co_u32_e32 v0, vcc, s14, v0
	v_addc_co_u32_e32 v1, vcc, v1, v19, vcc
	global_load_dwordx2 v[17:18], v[0:1], off
	global_load_dwordx2 v[76:77], v109, s[16:17] offset:2304
	v_add_co_u32_e32 v0, vcc, s14, v0
	v_addc_co_u32_e32 v1, vcc, v1, v19, vcc
	global_load_dwordx2 v[74:75], v109, s[16:17] offset:3744
	global_load_dwordx2 v[19:20], v[0:1], off
	v_mov_b32_e32 v2, s17
	v_addc_co_u32_e64 v73, vcc, 0, v2, s[6:7]
	v_lshlrev_b32_e32 v101, 3, v111
	v_add_u32_e32 v99, v101, v109
	s_load_dwordx4 s[8:11], s[2:3], 0x0
	v_cmp_gt_u16_e64 s[0:1], 18, v100
	s_waitcnt vmcnt(16)
	v_mul_f32_e32 v21, v6, v92
	v_mul_f32_e32 v2, v5, v92
	v_fmac_f32_e32 v21, v5, v91
	v_fma_f32 v22, v6, v91, -v2
	s_waitcnt vmcnt(14)
	v_mul_f32_e32 v5, v8, v90
	v_mul_f32_e32 v2, v7, v90
	v_fmac_f32_e32 v5, v7, v89
	v_fma_f32 v6, v8, v89, -v2
	ds_write_b64 v99, v[5:6] offset:1440
	s_waitcnt vmcnt(12)
	v_mul_f32_e32 v5, v10, v86
	v_mul_f32_e32 v2, v9, v86
	v_fmac_f32_e32 v5, v9, v85
	v_fma_f32 v6, v10, v85, -v2
	s_waitcnt vmcnt(10)
	v_mul_f32_e32 v2, v11, v88
	ds_write_b64 v99, v[5:6] offset:2880
	v_fma_f32 v6, v12, v87, -v2
	s_waitcnt vmcnt(8)
	v_mul_f32_e32 v2, v4, v83
	v_mul_f32_e32 v5, v12, v88
	v_fmac_f32_e32 v2, v3, v82
	v_mul_f32_e32 v3, v3, v83
	v_fmac_f32_e32 v5, v11, v87
	v_fma_f32 v3, v4, v82, -v3
	s_waitcnt vmcnt(6)
	v_mul_f32_e32 v4, v13, v81
	ds_write2_b64 v99, v[21:22], v[5:6] offset1:54
	v_fma_f32 v7, v14, v80, -v4
	s_waitcnt vmcnt(4)
	v_mul_f32_e32 v4, v16, v79
	v_mul_f32_e32 v5, v15, v79
	v_fmac_f32_e32 v4, v15, v78
	v_fma_f32 v5, v16, v78, -v5
	ds_write_b64 v99, v[4:5] offset:864
	s_waitcnt vmcnt(2)
	v_mul_f32_e32 v8, v18, v77
	v_mul_f32_e32 v4, v17, v77
	v_fmac_f32_e32 v8, v17, v76
	v_fma_f32 v9, v18, v76, -v4
	v_add_u32_e32 v4, 0x400, v99
	v_mul_f32_e32 v6, v14, v81
	ds_write2_b64 v4, v[2:3], v[8:9] offset0:106 offset1:160
	s_waitcnt vmcnt(0)
	v_mul_f32_e32 v2, v20, v75
	v_mul_f32_e32 v3, v19, v75
	v_fmac_f32_e32 v6, v13, v80
	v_fmac_f32_e32 v2, v19, v74
	v_fma_f32 v3, v20, v74, -v3
	v_add_u32_e32 v5, 0x800, v99
	ds_write2_b64 v5, v[6:7], v[2:3] offset0:158 offset1:212
	s_and_saveexec_b64 s[2:3], s[0:1]
	s_cbranch_execz .LBB0_3
; %bb.2:
	v_mov_b32_e32 v2, s19
	v_add_co_u32_e32 v0, vcc, s18, v0
	v_addc_co_u32_e32 v1, vcc, v1, v2, vcc
	global_load_dwordx2 v[2:3], v[0:1], off
	v_mov_b32_e32 v12, s15
	v_add_co_u32_e32 v0, vcc, s14, v0
	v_addc_co_u32_e32 v1, vcc, v1, v12, vcc
	global_load_dwordx2 v[6:7], v[0:1], off
	global_load_dwordx2 v[8:9], v[72:73], off offset:1296
	global_load_dwordx2 v[10:11], v[72:73], off offset:2736
	v_add_co_u32_e32 v0, vcc, s14, v0
	v_addc_co_u32_e32 v1, vcc, v1, v12, vcc
	v_add_co_u32_e32 v12, vcc, 0x1000, v72
	v_addc_co_u32_e32 v13, vcc, 0, v73, vcc
	global_load_dwordx2 v[14:15], v[12:13], off offset:80
	global_load_dwordx2 v[16:17], v[0:1], off
	s_waitcnt vmcnt(3)
	v_mul_f32_e32 v0, v3, v9
	v_mul_f32_e32 v1, v2, v9
	v_fmac_f32_e32 v0, v2, v8
	v_fma_f32 v1, v3, v8, -v1
	s_waitcnt vmcnt(2)
	v_mul_f32_e32 v2, v7, v11
	v_mul_f32_e32 v3, v6, v11
	v_fmac_f32_e32 v2, v6, v10
	v_fma_f32 v3, v7, v10, -v3
	ds_write2_b64 v4, v[0:1], v[2:3] offset0:34 offset1:214
	s_waitcnt vmcnt(0)
	v_mul_f32_e32 v6, v17, v15
	v_mul_f32_e32 v7, v16, v15
	v_fmac_f32_e32 v6, v16, v14
	v_fma_f32 v7, v17, v14, -v7
	ds_write_b64 v99, v[6:7] offset:4176
.LBB0_3:
	s_or_b64 exec, exec, s[2:3]
	s_waitcnt lgkmcnt(0)
	s_barrier
	ds_read2_b64 v[8:11], v99 offset1:54
	ds_read2_b64 v[0:3], v99 offset0:108 offset1:180
	ds_read2_b64 v[16:19], v5 offset0:104 offset1:158
	ds_read2_b64 v[12:15], v4 offset0:106 offset1:160
	ds_read_b64 v[22:23], v99 offset:3744
	s_load_dwordx2 s[4:5], s[4:5], 0x8
                                        ; implicit-def: $vgpr4
                                        ; implicit-def: $vgpr20
	s_and_saveexec_b64 s[2:3], s[0:1]
	s_cbranch_execz .LBB0_5
; %bb.4:
	v_add_u32_e32 v4, 0x400, v99
	ds_read2_b64 v[4:7], v4 offset0:34 offset1:214
	ds_read_b64 v[20:21], v99 offset:4176
.LBB0_5:
	s_or_b64 exec, exec, s[2:3]
	s_waitcnt lgkmcnt(0)
	v_add_f32_e32 v25, v2, v16
	v_add_f32_e32 v24, v8, v2
	v_fma_f32 v8, -0.5, v25, v8
	v_sub_f32_e32 v25, v3, v17
	v_mov_b32_e32 v26, v8
	v_fmac_f32_e32 v26, 0x3f5db3d7, v25
	v_fmac_f32_e32 v8, 0xbf5db3d7, v25
	v_add_f32_e32 v25, v9, v3
	v_add_f32_e32 v3, v3, v17
	v_fma_f32 v9, -0.5, v3, v9
	v_sub_f32_e32 v2, v2, v16
	v_mov_b32_e32 v27, v9
	v_add_f32_e32 v3, v12, v18
	v_fmac_f32_e32 v27, 0xbf5db3d7, v2
	v_fmac_f32_e32 v9, 0x3f5db3d7, v2
	v_add_f32_e32 v2, v10, v12
	v_fma_f32 v10, -0.5, v3, v10
	v_add_f32_e32 v24, v24, v16
	v_sub_f32_e32 v3, v13, v19
	v_mov_b32_e32 v16, v10
	v_fmac_f32_e32 v16, 0x3f5db3d7, v3
	v_fmac_f32_e32 v10, 0xbf5db3d7, v3
	v_add_f32_e32 v3, v11, v13
	v_add_f32_e32 v13, v13, v19
	v_fmac_f32_e32 v11, -0.5, v13
	v_add_f32_e32 v25, v25, v17
	v_sub_f32_e32 v12, v12, v18
	v_mov_b32_e32 v17, v11
	v_add_f32_e32 v13, v14, v22
	v_fmac_f32_e32 v17, 0xbf5db3d7, v12
	v_fmac_f32_e32 v11, 0x3f5db3d7, v12
	v_add_f32_e32 v12, v0, v14
	v_fma_f32 v0, -0.5, v13, v0
	v_add_f32_e32 v2, v2, v18
	v_sub_f32_e32 v13, v15, v23
	v_mov_b32_e32 v18, v0
	v_fmac_f32_e32 v18, 0x3f5db3d7, v13
	v_fmac_f32_e32 v0, 0xbf5db3d7, v13
	v_add_f32_e32 v13, v1, v15
	v_add_f32_e32 v15, v15, v23
	v_fmac_f32_e32 v1, -0.5, v15
	v_add_f32_e32 v3, v3, v19
	v_sub_f32_e32 v14, v14, v22
	v_mov_b32_e32 v19, v1
	v_fmac_f32_e32 v19, 0xbf5db3d7, v14
	v_fmac_f32_e32 v1, 0x3f5db3d7, v14
	v_add_f32_e32 v14, v6, v20
	v_fma_f32 v32, -0.5, v14, v4
	v_sub_f32_e32 v14, v7, v21
	v_mov_b32_e32 v54, v32
	v_fmac_f32_e32 v54, 0x3f5db3d7, v14
	v_fmac_f32_e32 v32, 0xbf5db3d7, v14
	v_add_f32_e32 v14, v7, v21
	v_fma_f32 v33, -0.5, v14, v5
	v_sub_f32_e32 v14, v6, v20
	v_mov_b32_e32 v55, v33
	v_fmac_f32_e32 v55, 0xbf5db3d7, v14
	v_fmac_f32_e32 v33, 0x3f5db3d7, v14
	v_mul_lo_u16_e32 v14, 3, v100
	v_add_co_u32_e32 v115, vcc, 54, v100
	v_lshl_add_u32 v104, v14, 3, v101
	s_barrier
	ds_write2_b64 v104, v[24:25], v[26:27] offset1:1
	ds_write_b64 v104, v[8:9] offset:16
	v_mul_u32_u24_e32 v8, 3, v115
	v_add_co_u32_e32 v114, vcc, 0x6c, v100
	s_movk_i32 s2, 0xa2
	v_lshl_add_u32 v105, v8, 3, v101
	v_add_co_u32_e32 v112, vcc, s2, v100
	ds_write2_b64 v105, v[2:3], v[16:17] offset1:1
	ds_write_b64 v105, v[10:11] offset:16
	v_mul_u32_u24_e32 v2, 3, v114
	v_addc_co_u32_e64 v113, s[2:3], 0, 0, vcc
	v_add_f32_e32 v12, v12, v22
	v_add_f32_e32 v13, v13, v23
	v_lshl_add_u32 v107, v2, 3, v101
	v_mul_u32_u24_e32 v106, 3, v112
	ds_write2_b64 v107, v[12:13], v[18:19] offset1:1
	ds_write_b64 v107, v[0:1] offset:16
	s_and_saveexec_b64 s[2:3], s[0:1]
	s_cbranch_execz .LBB0_7
; %bb.6:
	v_add_f32_e32 v0, v5, v7
	v_add_f32_e32 v1, v0, v21
	;; [unrolled: 1-line block ×4, first 2 shown]
	v_lshl_add_u32 v2, v106, 3, v101
	ds_write2_b64 v2, v[0:1], v[54:55] offset1:1
	ds_write_b64 v2, v[32:33] offset:16
.LBB0_7:
	s_or_b64 exec, exec, s[2:3]
	s_movk_i32 s2, 0xab
	v_mul_lo_u16_sdwa v0, v100, s2 dst_sel:DWORD dst_unused:UNUSED_PAD src0_sel:BYTE_0 src1_sel:DWORD
	v_lshrrev_b16_e32 v30, 9, v0
	v_mul_lo_u16_e32 v0, 3, v30
	v_sub_u16_e32 v0, v100, v0
	v_and_b32_e32 v31, 0xff, v0
	v_mov_b32_e32 v0, s4
	s_movk_i32 s2, 0x48
	v_mov_b32_e32 v1, s5
	v_mad_u64_u32 v[16:17], s[2:3], v31, s2, v[0:1]
	s_waitcnt lgkmcnt(0)
	s_barrier
	global_load_dwordx4 v[12:15], v[16:17], off
	global_load_dwordx4 v[8:11], v[16:17], off offset:16
	global_load_dwordx4 v[4:7], v[16:17], off offset:32
	;; [unrolled: 1-line block ×3, first 2 shown]
	global_load_dwordx2 v[93:94], v[16:17], off offset:64
	v_add_u32_e32 v16, 0x400, v99
	ds_read2_b64 v[18:21], v99 offset1:54
	ds_read2_b64 v[22:25], v99 offset0:108 offset1:162
	v_add_u32_e32 v17, 0x800, v99
	ds_read2_b64 v[26:29], v16 offset0:88 offset1:142
	ds_read2_b64 v[34:37], v17 offset0:68 offset1:122
	;; [unrolled: 1-line block ×3, first 2 shown]
	s_mov_b32 s14, 0x3f737871
	v_mul_u32_u24_e32 v30, 30, v30
	s_mov_b32 s15, 0x3f167918
	s_mov_b32 s2, 0xbf737871
	;; [unrolled: 1-line block ×3, first 2 shown]
	v_add_u32_e32 v30, v30, v31
	v_lshl_add_u32 v108, v30, 3, v101
	s_waitcnt vmcnt(0) lgkmcnt(0)
	s_barrier
	v_mul_f32_e32 v42, v21, v13
	v_mul_f32_e32 v43, v20, v13
	;; [unrolled: 1-line block ×12, first 2 shown]
	v_fma_f32 v42, v20, v12, -v42
	v_fmac_f32_e32 v43, v21, v12
	v_fma_f32 v20, v22, v14, -v44
	v_fma_f32 v21, v24, v8, -v46
	;; [unrolled: 1-line block ×5, first 2 shown]
	v_mul_f32_e32 v51, v28, v5
	v_mul_f32_e32 v53, v34, v7
	;; [unrolled: 1-line block ×4, first 2 shown]
	v_fmac_f32_e32 v47, v25, v8
	v_fma_f32 v25, v36, v0, -v56
	v_fmac_f32_e32 v57, v37, v0
	v_sub_f32_e32 v36, v20, v22
	v_sub_f32_e32 v37, v26, v24
	v_add_f32_e32 v38, v20, v26
	v_mul_f32_e32 v50, v29, v5
	v_mul_f32_e32 v61, v40, v94
	v_fmac_f32_e32 v49, v27, v10
	v_fmac_f32_e32 v51, v29, v4
	;; [unrolled: 1-line block ×4, first 2 shown]
	v_fma_f32 v27, v40, v93, -v60
	v_add_f32_e32 v29, v22, v24
	v_sub_f32_e32 v39, v22, v20
	v_sub_f32_e32 v40, v24, v26
	v_add_f32_e32 v36, v36, v37
	v_fma_f32 v37, -0.5, v38, v18
	v_fmac_f32_e32 v45, v23, v14
	v_fma_f32 v23, v28, v4, -v50
	v_add_f32_e32 v28, v18, v20
	v_sub_f32_e32 v35, v49, v53
	v_fma_f32 v29, -0.5, v29, v18
	v_add_f32_e32 v18, v39, v40
	v_mov_b32_e32 v40, v37
	v_sub_f32_e32 v34, v45, v59
	v_fmac_f32_e32 v37, 0x3f737871, v35
	v_fmac_f32_e32 v40, 0xbf737871, v35
	;; [unrolled: 1-line block ×5, first 2 shown]
	v_add_f32_e32 v41, v19, v45
	v_fmac_f32_e32 v37, 0x3e9e377a, v18
	v_fmac_f32_e32 v40, 0x3e9e377a, v18
	v_add_f32_e32 v18, v49, v53
	v_add_f32_e32 v38, v41, v49
	v_fma_f32 v41, -0.5, v18, v19
	v_add_f32_e32 v28, v28, v22
	v_sub_f32_e32 v18, v20, v26
	v_mov_b32_e32 v44, v41
	v_add_f32_e32 v28, v28, v24
	v_fmac_f32_e32 v44, 0xbf737871, v18
	v_sub_f32_e32 v20, v22, v24
	v_sub_f32_e32 v22, v45, v49
	v_sub_f32_e32 v24, v59, v53
	v_fmac_f32_e32 v41, 0x3f737871, v18
	v_fmac_f32_e32 v44, 0xbf167918, v20
	v_add_f32_e32 v22, v22, v24
	v_fmac_f32_e32 v41, 0x3f167918, v20
	v_fmac_f32_e32 v44, 0x3e9e377a, v22
	;; [unrolled: 1-line block ×3, first 2 shown]
	v_add_f32_e32 v22, v45, v59
	v_fma_f32 v46, -0.5, v22, v19
	v_mov_b32_e32 v48, v46
	v_fmac_f32_e32 v48, 0x3f737871, v20
	v_fmac_f32_e32 v46, 0xbf737871, v20
	;; [unrolled: 1-line block ×4, first 2 shown]
	v_add_f32_e32 v18, v42, v21
	v_mov_b32_e32 v39, v29
	v_add_f32_e32 v18, v18, v23
	v_fmac_f32_e32 v29, 0xbf737871, v34
	v_fmac_f32_e32 v39, 0x3f737871, v34
	v_add_f32_e32 v18, v18, v25
	v_fmac_f32_e32 v29, 0xbf167918, v35
	v_fmac_f32_e32 v39, 0x3f167918, v35
	v_add_f32_e32 v34, v18, v27
	v_add_f32_e32 v18, v23, v25
	;; [unrolled: 1-line block ×3, first 2 shown]
	v_fmac_f32_e32 v29, 0x3e9e377a, v36
	v_fmac_f32_e32 v39, 0x3e9e377a, v36
	v_sub_f32_e32 v19, v49, v45
	v_sub_f32_e32 v22, v53, v59
	v_fma_f32 v36, -0.5, v18, v42
	v_add_f32_e32 v35, v38, v59
	v_add_f32_e32 v19, v19, v22
	v_sub_f32_e32 v18, v47, v61
	v_mov_b32_e32 v38, v36
	v_fmac_f32_e32 v48, 0x3e9e377a, v19
	v_fmac_f32_e32 v46, 0x3e9e377a, v19
	;; [unrolled: 1-line block ×3, first 2 shown]
	v_sub_f32_e32 v19, v51, v57
	v_sub_f32_e32 v20, v21, v23
	;; [unrolled: 1-line block ×3, first 2 shown]
	v_fmac_f32_e32 v36, 0xbf737871, v18
	v_fmac_f32_e32 v38, 0x3f167918, v19
	v_add_f32_e32 v20, v20, v22
	v_fmac_f32_e32 v36, 0xbf167918, v19
	v_fmac_f32_e32 v38, 0x3e9e377a, v20
	;; [unrolled: 1-line block ×3, first 2 shown]
	v_add_f32_e32 v20, v21, v27
	v_fmac_f32_e32 v42, -0.5, v20
	v_mov_b32_e32 v45, v42
	v_fmac_f32_e32 v45, 0xbf737871, v19
	v_fmac_f32_e32 v42, 0x3f737871, v19
	;; [unrolled: 1-line block ×4, first 2 shown]
	v_add_f32_e32 v18, v43, v47
	v_add_f32_e32 v18, v18, v51
	;; [unrolled: 1-line block ×5, first 2 shown]
	v_sub_f32_e32 v20, v23, v21
	v_sub_f32_e32 v22, v25, v27
	v_fma_f32 v50, -0.5, v18, v43
	v_add_f32_e32 v20, v20, v22
	v_sub_f32_e32 v18, v21, v27
	v_mov_b32_e32 v21, v50
	v_fmac_f32_e32 v45, 0x3e9e377a, v20
	v_fmac_f32_e32 v42, 0x3e9e377a, v20
	;; [unrolled: 1-line block ×3, first 2 shown]
	v_sub_f32_e32 v19, v23, v25
	v_sub_f32_e32 v20, v47, v51
	;; [unrolled: 1-line block ×3, first 2 shown]
	v_fmac_f32_e32 v50, 0x3f737871, v18
	v_fmac_f32_e32 v21, 0xbf167918, v19
	v_add_f32_e32 v20, v20, v22
	v_fmac_f32_e32 v50, 0x3f167918, v19
	v_fmac_f32_e32 v21, 0x3e9e377a, v20
	;; [unrolled: 1-line block ×3, first 2 shown]
	v_add_f32_e32 v20, v47, v61
	v_fmac_f32_e32 v43, -0.5, v20
	v_mov_b32_e32 v23, v43
	v_fmac_f32_e32 v23, 0x3f737871, v19
	v_sub_f32_e32 v20, v51, v47
	v_sub_f32_e32 v22, v57, v61
	v_fmac_f32_e32 v23, 0xbf167918, v18
	v_add_f32_e32 v20, v20, v22
	v_fmac_f32_e32 v43, 0xbf737871, v19
	v_fmac_f32_e32 v23, 0x3e9e377a, v20
	;; [unrolled: 1-line block ×4, first 2 shown]
	v_mul_f32_e32 v47, 0x3f167918, v21
	v_mul_f32_e32 v51, 0x3f737871, v23
	;; [unrolled: 1-line block ×4, first 2 shown]
	v_add_f32_e32 v28, v28, v26
	v_fmac_f32_e32 v47, 0x3f4f1bbd, v38
	v_fmac_f32_e32 v51, 0x3e9e377a, v45
	v_fma_f32 v52, v43, s14, -v19
	v_mul_f32_e32 v19, 0x3f4f1bbd, v36
	v_fmac_f32_e32 v56, 0x3f4f1bbd, v21
	v_mul_f32_e32 v45, 0xbf737871, v45
	v_mul_f32_e32 v25, 0x3e9e377a, v43
	;; [unrolled: 1-line block ×3, first 2 shown]
	v_add_f32_e32 v18, v28, v34
	v_add_f32_e32 v20, v39, v47
	v_fma_f32 v53, v50, s15, -v19
	v_add_f32_e32 v19, v35, v49
	v_add_f32_e32 v21, v44, v56
	v_fmac_f32_e32 v45, 0x3e9e377a, v23
	v_fma_f32 v42, v42, s2, -v25
	v_fma_f32 v43, v36, s3, -v27
	v_add_f32_e32 v22, v40, v51
	v_add_f32_e32 v24, v37, v52
	;; [unrolled: 1-line block ×6, first 2 shown]
	v_sub_f32_e32 v28, v28, v34
	v_sub_f32_e32 v34, v39, v47
	;; [unrolled: 1-line block ×10, first 2 shown]
	ds_write2_b64 v108, v[18:19], v[20:21] offset1:3
	ds_write2_b64 v108, v[22:23], v[24:25] offset0:6 offset1:9
	ds_write2_b64 v108, v[26:27], v[28:29] offset0:12 offset1:15
	ds_write2_b64 v108, v[34:35], v[36:37] offset0:18 offset1:21
	ds_write2_b64 v108, v[38:39], v[40:41] offset0:24 offset1:27
	s_waitcnt lgkmcnt(0)
	s_barrier
	ds_read2_b64 v[42:45], v99 offset1:90
	ds_read2_b64 v[50:53], v16 offset0:52 offset1:142
	ds_read2_b64 v[46:49], v17 offset0:104 offset1:194
	v_cmp_gt_u16_e64 s[2:3], 36, v100
	s_and_saveexec_b64 s[14:15], s[2:3]
	s_cbranch_execz .LBB0_9
; %bb.8:
	ds_read2_b64 v[30:33], v17 offset0:158 offset1:248
	ds_read2_b64 v[34:37], v99 offset0:54 offset1:144
	;; [unrolled: 1-line block ×3, first 2 shown]
	s_waitcnt lgkmcnt(2)
	v_mov_b32_e32 v54, v30
	v_mov_b32_e32 v55, v31
.LBB0_9:
	s_or_b64 exec, exec, s[14:15]
	v_subrev_u32_e32 v16, 30, v100
	v_cmp_gt_u16_e32 vcc, 30, v100
	v_cndmask_b32_e32 v62, v16, v100, vcc
	v_mul_i32_i24_e32 v17, 40, v62
	v_mul_hi_i32_i24_e32 v16, 40, v62
	v_mov_b32_e32 v18, s5
	v_add_co_u32_e32 v24, vcc, s4, v17
	v_addc_co_u32_e32 v25, vcc, v18, v16, vcc
	s_movk_i32 s14, 0x89
	global_load_dwordx4 v[20:23], v[24:25], off offset:216
	global_load_dwordx4 v[16:19], v[24:25], off offset:232
	global_load_dwordx2 v[95:96], v[24:25], off offset:248
	v_mul_lo_u16_sdwa v24, v115, s14 dst_sel:DWORD dst_unused:UNUSED_PAD src0_sel:BYTE_0 src1_sel:DWORD
	v_lshrrev_b16_e32 v102, 12, v24
	v_mul_lo_u16_e32 v24, 30, v102
	v_sub_u16_e32 v24, v115, v24
	v_and_b32_e32 v103, 0xff, v24
	v_mad_u64_u32 v[56:57], s[14:15], v103, 40, s[4:5]
	global_load_dwordx4 v[28:31], v[56:57], off offset:216
	global_load_dwordx4 v[24:27], v[56:57], off offset:232
	global_load_dwordx2 v[97:98], v[56:57], off offset:248
	v_cmp_lt_u16_e32 vcc, 29, v100
	s_waitcnt vmcnt(0) lgkmcnt(0)
	s_barrier
	v_mul_f32_e32 v57, v44, v21
	v_mul_f32_e32 v60, v53, v17
	v_mul_f32_e32 v64, v46, v19
	v_mul_f32_e32 v65, v49, v96
	v_mul_f32_e32 v56, v45, v21
	v_mul_f32_e32 v58, v51, v23
	v_mul_f32_e32 v59, v50, v23
	v_mul_f32_e32 v61, v52, v17
	v_mul_f32_e32 v63, v47, v19
	v_mul_f32_e32 v66, v48, v96
	v_fmac_f32_e32 v57, v45, v20
	v_fma_f32 v45, v52, v16, -v60
	v_fmac_f32_e32 v64, v47, v18
	v_fma_f32 v47, v48, v95, -v65
	v_fma_f32 v56, v44, v20, -v56
	;; [unrolled: 1-line block ×3, first 2 shown]
	v_fmac_f32_e32 v59, v51, v22
	v_fmac_f32_e32 v61, v53, v16
	v_fma_f32 v46, v46, v18, -v63
	v_fmac_f32_e32 v66, v49, v95
	v_add_f32_e32 v58, v45, v47
	v_add_f32_e32 v49, v44, v46
	v_sub_f32_e32 v50, v59, v64
	v_add_f32_e32 v51, v43, v59
	v_add_f32_e32 v52, v59, v64
	v_add_f32_e32 v53, v56, v45
	v_sub_f32_e32 v59, v61, v66
	v_add_f32_e32 v60, v57, v61
	v_add_f32_e32 v61, v61, v66
	v_fmac_f32_e32 v56, -0.5, v58
	v_add_f32_e32 v48, v42, v44
	v_fma_f32 v42, -0.5, v49, v42
	v_add_f32_e32 v49, v51, v64
	v_fma_f32 v43, -0.5, v52, v43
	v_add_f32_e32 v52, v60, v66
	v_fmac_f32_e32 v57, -0.5, v61
	v_mov_b32_e32 v58, v56
	v_mul_f32_e32 v64, v40, v25
	v_mul_f32_e32 v66, v33, v98
	;; [unrolled: 1-line block ×3, first 2 shown]
	v_fmac_f32_e32 v56, 0xbf5db3d7, v59
	v_fmac_f32_e32 v58, 0x3f5db3d7, v59
	v_mul_f32_e32 v63, v38, v31
	v_mul_f32_e32 v59, v41, v25
	v_fmac_f32_e32 v64, v41, v24
	v_fma_f32 v41, v32, v97, -v66
	v_fmac_f32_e32 v67, v33, v97
	v_sub_f32_e32 v32, v45, v47
	v_mov_b32_e32 v33, v57
	v_sub_f32_e32 v44, v44, v46
	v_add_f32_e32 v48, v48, v46
	v_add_f32_e32 v51, v53, v47
	v_mov_b32_e32 v53, v42
	v_mul_f32_e32 v46, v39, v31
	v_fmac_f32_e32 v63, v39, v30
	v_fmac_f32_e32 v33, 0xbf5db3d7, v32
	;; [unrolled: 1-line block ×3, first 2 shown]
	v_mul_f32_e32 v39, 0xbf5db3d7, v58
	v_fmac_f32_e32 v42, 0xbf5db3d7, v50
	v_mov_b32_e32 v61, v43
	v_fmac_f32_e32 v53, 0x3f5db3d7, v50
	v_mul_f32_e32 v50, v36, v29
	v_mul_f32_e32 v60, v55, v27
	;; [unrolled: 1-line block ×3, first 2 shown]
	v_fmac_f32_e32 v39, 0.5, v33
	v_mul_f32_e32 v33, -0.5, v57
	v_fmac_f32_e32 v43, 0x3f5db3d7, v44
	v_fmac_f32_e32 v61, 0xbf5db3d7, v44
	v_mul_f32_e32 v44, v37, v29
	v_mul_f32_e32 v65, v54, v27
	v_fmac_f32_e32 v50, v37, v28
	v_fma_f32 v37, v38, v30, -v46
	v_fma_f32 v38, v54, v26, -v60
	v_fmac_f32_e32 v33, 0xbf5db3d7, v56
	v_fma_f32 v68, v36, v28, -v44
	v_fma_f32 v40, v40, v24, -v59
	v_fmac_f32_e32 v65, v55, v26
	v_fmac_f32_e32 v32, 0.5, v58
	v_mul_f32_e32 v36, -0.5, v56
	v_add_f32_e32 v47, v61, v39
	v_add_f32_e32 v55, v43, v33
	v_sub_f32_e32 v59, v61, v39
	v_sub_f32_e32 v61, v43, v33
	v_add_f32_e32 v33, v37, v38
	v_add_f32_e32 v46, v53, v32
	v_fmac_f32_e32 v36, 0x3f5db3d7, v57
	v_sub_f32_e32 v58, v53, v32
	v_add_f32_e32 v32, v34, v37
	v_fmac_f32_e32 v34, -0.5, v33
	v_add_f32_e32 v54, v42, v36
	v_sub_f32_e32 v60, v42, v36
	v_sub_f32_e32 v36, v63, v65
	v_mov_b32_e32 v33, v34
	v_add_f32_e32 v39, v63, v65
	v_fmac_f32_e32 v33, 0x3f5db3d7, v36
	v_fmac_f32_e32 v34, 0xbf5db3d7, v36
	v_add_f32_e32 v36, v35, v63
	v_fmac_f32_e32 v35, -0.5, v39
	v_add_f32_e32 v32, v32, v38
	v_sub_f32_e32 v38, v37, v38
	v_mov_b32_e32 v37, v35
	v_add_f32_e32 v39, v40, v41
	v_fmac_f32_e32 v37, 0xbf5db3d7, v38
	v_fmac_f32_e32 v35, 0x3f5db3d7, v38
	v_add_f32_e32 v38, v68, v40
	v_fmac_f32_e32 v68, -0.5, v39
	v_sub_f32_e32 v39, v64, v67
	v_mov_b32_e32 v42, v68
	v_add_f32_e32 v43, v64, v67
	v_fmac_f32_e32 v42, 0x3f5db3d7, v39
	v_fmac_f32_e32 v68, 0xbf5db3d7, v39
	v_add_f32_e32 v39, v50, v64
	v_fmac_f32_e32 v50, -0.5, v43
	v_sub_f32_e32 v40, v40, v41
	v_mov_b32_e32 v43, v50
	v_fmac_f32_e32 v43, 0xbf5db3d7, v40
	v_fmac_f32_e32 v50, 0x3f5db3d7, v40
	v_mul_f32_e32 v40, 0x3f5db3d7, v43
	v_fmac_f32_e32 v40, 0.5, v42
	v_mul_f32_e32 v42, 0xbf5db3d7, v42
	v_mov_b32_e32 v63, 0xb4
	v_add_f32_e32 v38, v38, v41
	v_mul_f32_e32 v41, -0.5, v68
	v_fmac_f32_e32 v42, 0.5, v43
	v_mul_f32_e32 v43, -0.5, v50
	v_cndmask_b32_e32 v63, 0, v63, vcc
	v_add_f32_e32 v36, v36, v65
	v_add_f32_e32 v39, v39, v67
	v_fmac_f32_e32 v41, 0x3f5db3d7, v50
	v_fmac_f32_e32 v43, 0xbf5db3d7, v68
	v_add_u32_e32 v62, v62, v63
	v_add_f32_e32 v44, v48, v51
	v_add_f32_e32 v45, v49, v52
	v_sub_f32_e32 v56, v48, v51
	v_sub_f32_e32 v57, v49, v52
	v_sub_f32_e32 v48, v32, v38
	v_sub_f32_e32 v50, v33, v40
	v_sub_f32_e32 v52, v34, v41
	v_sub_f32_e32 v49, v36, v39
	v_sub_f32_e32 v51, v37, v42
	v_sub_f32_e32 v53, v35, v43
	v_lshl_add_u32 v110, v62, 3, v101
	ds_write2_b64 v110, v[44:45], v[46:47] offset1:30
	ds_write2_b64 v110, v[54:55], v[56:57] offset0:60 offset1:90
	ds_write2_b64 v110, v[58:59], v[60:61] offset0:120 offset1:150
	s_and_saveexec_b64 s[14:15], s[2:3]
	s_cbranch_execz .LBB0_11
; %bb.10:
	v_add_f32_e32 v38, v32, v38
	v_mul_u32_u24_e32 v32, 0xb4, v102
	v_add_u32_e32 v32, v32, v103
	v_add_f32_e32 v37, v37, v42
	v_add_f32_e32 v39, v36, v39
	;; [unrolled: 1-line block ×3, first 2 shown]
	v_lshl_add_u32 v32, v32, 3, v101
	v_add_f32_e32 v35, v35, v43
	v_add_f32_e32 v34, v34, v41
	ds_write2_b64 v32, v[38:39], v[36:37] offset1:30
	ds_write2_b64 v32, v[34:35], v[48:49] offset0:60 offset1:90
	ds_write2_b64 v32, v[50:51], v[52:53] offset0:120 offset1:150
.LBB0_11:
	s_or_b64 exec, exec, s[14:15]
	v_add_u32_e32 v32, 0x800, v99
	s_waitcnt lgkmcnt(0)
	s_barrier
	ds_read2_b64 v[58:61], v99 offset1:54
	ds_read2_b64 v[54:57], v99 offset0:108 offset1:180
	ds_read2_b64 v[62:65], v32 offset0:104 offset1:158
	v_add_u32_e32 v32, 0x400, v99
	ds_read2_b64 v[66:69], v32 offset0:106 offset1:160
	ds_read_b64 v[70:71], v99 offset:3744
	s_and_saveexec_b64 s[14:15], s[0:1]
	s_cbranch_execz .LBB0_13
; %bb.12:
	ds_read2_b64 v[48:51], v32 offset0:34 offset1:214
	ds_read_b64 v[52:53], v99 offset:4176
.LBB0_13:
	s_or_b64 exec, exec, s[14:15]
	v_lshlrev_b32_e32 v32, 4, v100
	global_load_dwordx4 v[36:39], v32, s[4:5] offset:1416
	v_lshlrev_b32_e32 v32, 4, v115
	global_load_dwordx4 v[40:43], v32, s[4:5] offset:1416
	v_lshlrev_b32_e32 v32, 4, v114
	s_movk_i32 s14, 0xffee
	global_load_dwordx4 v[44:47], v32, s[4:5] offset:1416
	v_add_co_u32_e32 v32, vcc, s14, v100
	v_addc_co_u32_e64 v33, s[14:15], 0, -1, vcc
	v_cndmask_b32_e64 v33, v33, v113, s[0:1]
	v_cndmask_b32_e64 v32, v32, v112, s[0:1]
	v_lshlrev_b64 v[32:33], 4, v[32:33]
	v_mov_b32_e32 v34, s5
	v_add_co_u32_e32 v32, vcc, s4, v32
	v_addc_co_u32_e32 v33, vcc, v34, v33, vcc
	global_load_dwordx4 v[32:35], v[32:33], off offset:1416
	v_lshl_add_u32 v109, v111, 3, v109
	s_waitcnt vmcnt(3) lgkmcnt(3)
	v_mul_f32_e32 v111, v57, v37
	v_mul_f32_e32 v112, v56, v37
	s_waitcnt lgkmcnt(2)
	v_mul_f32_e32 v113, v63, v39
	v_mul_f32_e32 v114, v62, v39
	s_waitcnt vmcnt(2) lgkmcnt(1)
	v_mul_f32_e32 v115, v67, v41
	v_mul_f32_e32 v117, v65, v43
	;; [unrolled: 1-line block ×3, first 2 shown]
	s_waitcnt vmcnt(1)
	v_mul_f32_e32 v119, v69, v45
	v_mul_f32_e32 v120, v68, v45
	s_waitcnt lgkmcnt(0)
	v_mul_f32_e32 v121, v71, v47
	v_fma_f32 v56, v56, v36, -v111
	v_fmac_f32_e32 v112, v57, v36
	v_fma_f32 v57, v62, v38, -v113
	v_fmac_f32_e32 v114, v63, v38
	v_fma_f32 v62, v66, v40, -v115
	v_fma_f32 v63, v64, v42, -v117
	v_mul_f32_e32 v116, v66, v41
	v_fmac_f32_e32 v118, v65, v42
	v_fma_f32 v111, v68, v44, -v119
	v_fmac_f32_e32 v120, v69, v44
	v_fma_f32 v113, v70, v46, -v121
	v_add_f32_e32 v65, v56, v57
	v_add_f32_e32 v69, v62, v63
	v_mul_f32_e32 v122, v70, v47
	v_fmac_f32_e32 v116, v67, v40
	v_add_f32_e32 v64, v58, v56
	v_add_f32_e32 v66, v59, v112
	;; [unrolled: 1-line block ×4, first 2 shown]
	v_fma_f32 v58, -0.5, v65, v58
	v_fma_f32 v60, -0.5, v69, v60
	v_fmac_f32_e32 v122, v71, v46
	v_sub_f32_e32 v70, v112, v114
	v_add_f32_e32 v67, v112, v114
	v_sub_f32_e32 v71, v56, v57
	v_sub_f32_e32 v112, v116, v118
	;; [unrolled: 1-line block ×3, first 2 shown]
	v_add_f32_e32 v119, v54, v111
	v_add_f32_e32 v56, v64, v57
	;; [unrolled: 1-line block ×4, first 2 shown]
	v_mov_b32_e32 v66, v58
	v_mov_b32_e32 v68, v60
	s_waitcnt vmcnt(0)
	v_mul_f32_e32 v65, v51, v33
	v_fma_f32 v54, -0.5, v121, v54
	v_fmac_f32_e32 v58, 0xbf5db3d7, v70
	v_fmac_f32_e32 v60, 0xbf5db3d7, v112
	v_mul_f32_e32 v114, v50, v33
	v_fmac_f32_e32 v66, 0x3f5db3d7, v70
	v_fmac_f32_e32 v68, 0x3f5db3d7, v112
	v_fma_f32 v112, v50, v32, -v65
	v_sub_f32_e32 v50, v120, v122
	v_mov_b32_e32 v70, v54
	v_add_f32_e32 v115, v61, v116
	v_fmac_f32_e32 v70, 0x3f5db3d7, v50
	v_fmac_f32_e32 v54, 0xbf5db3d7, v50
	v_add_f32_e32 v50, v55, v120
	v_fma_f32 v59, -0.5, v67, v59
	v_add_f32_e32 v63, v115, v118
	v_mul_f32_e32 v115, v53, v35
	v_add_f32_e32 v65, v50, v122
	v_add_f32_e32 v50, v120, v122
	;; [unrolled: 1-line block ×3, first 2 shown]
	v_mov_b32_e32 v67, v59
	v_fma_f32 v115, v52, v34, -v115
	v_fmac_f32_e32 v55, -0.5, v50
	v_fmac_f32_e32 v61, -0.5, v116
	v_fmac_f32_e32 v59, 0x3f5db3d7, v71
	v_mul_f32_e32 v116, v52, v35
	v_fmac_f32_e32 v67, 0xbf5db3d7, v71
	v_fmac_f32_e32 v114, v51, v32
	v_sub_f32_e32 v50, v111, v113
	v_mov_b32_e32 v71, v55
	v_add_f32_e32 v51, v112, v115
	v_fmac_f32_e32 v116, v53, v34
	v_fmac_f32_e32 v71, 0xbf5db3d7, v50
	;; [unrolled: 1-line block ×3, first 2 shown]
	v_add_f32_e32 v50, v48, v112
	v_fmac_f32_e32 v48, -0.5, v51
	v_sub_f32_e32 v51, v114, v116
	v_mov_b32_e32 v52, v48
	v_add_f32_e32 v53, v114, v116
	v_fmac_f32_e32 v52, 0x3f5db3d7, v51
	v_fmac_f32_e32 v48, 0xbf5db3d7, v51
	v_add_f32_e32 v51, v49, v114
	v_fmac_f32_e32 v49, -0.5, v53
	v_mov_b32_e32 v69, v61
	v_sub_f32_e32 v111, v112, v115
	v_mov_b32_e32 v53, v49
	v_add_f32_e32 v64, v119, v113
	v_fmac_f32_e32 v61, 0x3f5db3d7, v117
	v_fmac_f32_e32 v69, 0xbf5db3d7, v117
	v_add_f32_e32 v50, v50, v115
	v_add_f32_e32 v51, v51, v116
	v_fmac_f32_e32 v53, 0xbf5db3d7, v111
	v_fmac_f32_e32 v49, 0x3f5db3d7, v111
	ds_write_b64 v99, v[66:67] offset:1440
	ds_write_b64 v99, v[58:59] offset:2880
	ds_write2_b64 v99, v[56:57], v[62:63] offset1:54
	ds_write_b64 v99, v[68:69] offset:1872
	ds_write_b64 v99, v[60:61] offset:3312
	;; [unrolled: 1-line block ×3, first 2 shown]
	v_add_u32_e32 v56, 0x800, v109
	ds_write2_b64 v56, v[70:71], v[54:55] offset0:32 offset1:212
	s_and_saveexec_b64 s[4:5], s[0:1]
	s_cbranch_execz .LBB0_15
; %bb.14:
	v_add_u32_e32 v54, 0x400, v99
	ds_write2_b64 v54, v[50:51], v[52:53] offset0:34 offset1:214
	ds_write_b64 v99, v[48:49] offset:4176
.LBB0_15:
	s_or_b64 exec, exec, s[4:5]
	v_mov_b32_e32 v54, s17
	v_addc_co_u32_e64 v61, vcc, 0, v54, s[6:7]
	v_add_co_u32_e32 v54, vcc, 0x10e0, v72
	v_addc_co_u32_e32 v55, vcc, 0, v61, vcc
	v_add_co_u32_e32 v60, vcc, 0x1000, v72
	v_addc_co_u32_e32 v61, vcc, 0, v61, vcc
	s_waitcnt lgkmcnt(0)
	s_barrier
	global_load_dwordx2 v[60:61], v[60:61], off offset:224
	ds_read2_b64 v[56:59], v99 offset1:54
	s_waitcnt vmcnt(0) lgkmcnt(0)
	v_mul_f32_e32 v62, v57, v61
	v_mul_f32_e32 v70, v56, v61
	v_fma_f32 v69, v56, v60, -v62
	v_fmac_f32_e32 v70, v57, v60
	global_load_dwordx2 v[56:57], v[54:55], off offset:1440
	ds_read2_b64 v[60:63], v99 offset0:108 offset1:180
	s_waitcnt vmcnt(0) lgkmcnt(0)
	v_mul_f32_e32 v64, v63, v57
	v_mul_f32_e32 v112, v62, v57
	v_fma_f32 v111, v62, v56, -v64
	v_fmac_f32_e32 v112, v63, v56
	global_load_dwordx2 v[56:57], v[54:55], off offset:2880
	v_add_u32_e32 v64, 0x800, v99
	ds_read2_b64 v[65:68], v64 offset0:104 offset1:158
	s_waitcnt vmcnt(0) lgkmcnt(0)
	v_mul_f32_e32 v62, v66, v57
	v_mul_f32_e32 v63, v65, v57
	v_fma_f32 v62, v65, v56, -v62
	v_fmac_f32_e32 v63, v66, v56
	global_load_dwordx2 v[56:57], v[54:55], off offset:432
	s_waitcnt vmcnt(0)
	v_mul_f32_e32 v65, v59, v57
	v_mul_f32_e32 v66, v58, v57
	v_fma_f32 v65, v58, v56, -v65
	v_fmac_f32_e32 v66, v59, v56
	ds_write2_b64 v99, v[69:70], v[65:66] offset1:54
	global_load_dwordx2 v[69:70], v[54:55], off offset:1872
	v_add_u32_e32 v65, 0x400, v99
	ds_read2_b64 v[56:59], v65 offset0:106 offset1:160
	s_waitcnt vmcnt(0) lgkmcnt(0)
	v_mul_f32_e32 v66, v57, v70
	v_mul_f32_e32 v114, v56, v70
	v_fma_f32 v113, v56, v69, -v66
	v_fmac_f32_e32 v114, v57, v69
	global_load_dwordx2 v[56:57], v[54:55], off offset:3312
	s_waitcnt vmcnt(0)
	v_mul_f32_e32 v66, v68, v57
	v_fma_f32 v66, v67, v56, -v66
	v_mul_f32_e32 v67, v67, v57
	v_fmac_f32_e32 v67, v68, v56
	global_load_dwordx2 v[56:57], v[54:55], off offset:864
	ds_write2_b64 v64, v[62:63], v[66:67] offset0:104 offset1:158
	s_waitcnt vmcnt(0)
	v_mul_f32_e32 v62, v61, v57
	v_mul_f32_e32 v63, v60, v57
	v_fma_f32 v62, v60, v56, -v62
	v_fmac_f32_e32 v63, v61, v56
	global_load_dwordx2 v[56:57], v[54:55], off offset:2304
	ds_write2_b64 v99, v[62:63], v[111:112] offset0:108 offset1:180
	s_waitcnt vmcnt(0)
	v_mul_f32_e32 v60, v59, v57
	v_mul_f32_e32 v61, v58, v57
	v_fma_f32 v60, v58, v56, -v60
	v_fmac_f32_e32 v61, v59, v56
	global_load_dwordx2 v[58:59], v[54:55], off offset:3744
	ds_read_b64 v[56:57], v99 offset:3744
	ds_write2_b64 v65, v[113:114], v[60:61] offset0:106 offset1:160
	s_waitcnt vmcnt(0) lgkmcnt(1)
	v_mul_f32_e32 v60, v57, v59
	v_mul_f32_e32 v61, v56, v59
	v_fma_f32 v60, v56, v58, -v60
	v_fmac_f32_e32 v61, v57, v58
	ds_write_b64 v99, v[60:61] offset:3744
	s_and_saveexec_b64 s[4:5], s[0:1]
	s_cbranch_execz .LBB0_17
; %bb.16:
	global_load_dwordx2 v[58:59], v[54:55], off offset:1296
	global_load_dwordx2 v[60:61], v[54:55], off offset:2736
	v_add_co_u32_e32 v54, vcc, 0x1000, v54
	v_addc_co_u32_e32 v55, vcc, 0, v55, vcc
	global_load_dwordx2 v[62:63], v[54:55], off offset:80
	ds_read2_b64 v[54:57], v65 offset0:34 offset1:214
	ds_read_b64 v[66:67], v99 offset:4176
	s_waitcnt vmcnt(2) lgkmcnt(1)
	v_mul_f32_e32 v68, v55, v59
	v_mul_f32_e32 v69, v54, v59
	s_waitcnt vmcnt(1)
	v_mul_f32_e32 v70, v57, v61
	v_mul_f32_e32 v59, v56, v61
	v_fma_f32 v68, v54, v58, -v68
	v_fmac_f32_e32 v69, v55, v58
	s_waitcnt vmcnt(0) lgkmcnt(0)
	v_mul_f32_e32 v54, v67, v63
	v_mul_f32_e32 v55, v66, v63
	v_fma_f32 v58, v56, v60, -v70
	v_fmac_f32_e32 v59, v57, v60
	v_fma_f32 v54, v66, v62, -v54
	v_fmac_f32_e32 v55, v67, v62
	ds_write2_b64 v65, v[68:69], v[58:59] offset0:34 offset1:214
	ds_write_b64 v99, v[54:55] offset:4176
.LBB0_17:
	s_or_b64 exec, exec, s[4:5]
	s_waitcnt lgkmcnt(0)
	s_barrier
	ds_read2_b64 v[60:63], v99 offset1:54
	ds_read2_b64 v[56:59], v99 offset0:108 offset1:180
	ds_read2_b64 v[68:71], v64 offset0:104 offset1:158
	;; [unrolled: 1-line block ×3, first 2 shown]
	ds_read_b64 v[54:55], v99 offset:3744
	s_and_saveexec_b64 s[4:5], s[0:1]
	s_cbranch_execz .LBB0_19
; %bb.18:
	v_add_u32_e32 v48, 0x400, v99
	ds_read2_b64 v[50:53], v48 offset0:34 offset1:214
	ds_read_b64 v[48:49], v99 offset:4176
.LBB0_19:
	s_or_b64 exec, exec, s[4:5]
	s_waitcnt lgkmcnt(2)
	v_add_f32_e32 v112, v58, v68
	v_add_f32_e32 v111, v60, v58
	v_fma_f32 v60, -0.5, v112, v60
	v_sub_f32_e32 v112, v59, v69
	v_mov_b32_e32 v113, v60
	v_fmac_f32_e32 v113, 0xbf5db3d7, v112
	v_fmac_f32_e32 v60, 0x3f5db3d7, v112
	v_add_f32_e32 v112, v61, v59
	v_add_f32_e32 v59, v59, v69
	v_fma_f32 v61, -0.5, v59, v61
	v_sub_f32_e32 v58, v58, v68
	v_mov_b32_e32 v114, v61
	v_fmac_f32_e32 v114, 0x3f5db3d7, v58
	v_fmac_f32_e32 v61, 0xbf5db3d7, v58
	s_waitcnt lgkmcnt(1)
	v_add_f32_e32 v58, v62, v64
	v_add_f32_e32 v111, v111, v68
	;; [unrolled: 1-line block ×4, first 2 shown]
	v_fma_f32 v62, -0.5, v58, v62
	v_sub_f32_e32 v58, v65, v71
	v_mov_b32_e32 v115, v62
	v_fmac_f32_e32 v115, 0xbf5db3d7, v58
	v_fmac_f32_e32 v62, 0x3f5db3d7, v58
	v_add_f32_e32 v58, v63, v65
	v_add_f32_e32 v112, v112, v69
	;; [unrolled: 1-line block ×4, first 2 shown]
	v_fmac_f32_e32 v63, -0.5, v58
	v_sub_f32_e32 v58, v64, v70
	v_mov_b32_e32 v116, v63
	v_fmac_f32_e32 v116, 0x3f5db3d7, v58
	v_fmac_f32_e32 v63, 0xbf5db3d7, v58
	v_add_f32_e32 v58, v56, v66
	s_waitcnt lgkmcnt(0)
	v_add_f32_e32 v64, v58, v54
	v_add_f32_e32 v58, v66, v54
	v_fma_f32 v56, -0.5, v58, v56
	v_sub_f32_e32 v58, v67, v55
	v_mov_b32_e32 v70, v56
	v_fmac_f32_e32 v70, 0xbf5db3d7, v58
	v_fmac_f32_e32 v56, 0x3f5db3d7, v58
	v_add_f32_e32 v58, v57, v67
	v_add_f32_e32 v65, v58, v55
	v_add_f32_e32 v55, v67, v55
	v_fmac_f32_e32 v57, -0.5, v55
	v_sub_f32_e32 v54, v66, v54
	v_mov_b32_e32 v71, v57
	v_fmac_f32_e32 v71, 0x3f5db3d7, v54
	v_fmac_f32_e32 v57, 0xbf5db3d7, v54
	v_add_f32_e32 v54, v52, v48
	v_fma_f32 v54, -0.5, v54, v50
	v_sub_f32_e32 v55, v53, v49
	v_mov_b32_e32 v58, v54
	v_fmac_f32_e32 v58, 0xbf5db3d7, v55
	v_fmac_f32_e32 v54, 0x3f5db3d7, v55
	v_add_f32_e32 v55, v53, v49
	v_fma_f32 v55, -0.5, v55, v51
	v_sub_f32_e32 v66, v52, v48
	v_mov_b32_e32 v59, v55
	v_fmac_f32_e32 v59, 0x3f5db3d7, v66
	v_fmac_f32_e32 v55, 0xbf5db3d7, v66
	s_barrier
	ds_write2_b64 v104, v[111:112], v[113:114] offset1:1
	ds_write_b64 v104, v[60:61] offset:16
	ds_write2_b64 v105, v[68:69], v[115:116] offset1:1
	ds_write_b64 v105, v[62:63] offset:16
	;; [unrolled: 2-line block ×3, first 2 shown]
	s_and_saveexec_b64 s[4:5], s[0:1]
	s_cbranch_execz .LBB0_21
; %bb.20:
	v_add_f32_e32 v51, v51, v53
	v_add_f32_e32 v50, v50, v52
	;; [unrolled: 1-line block ×4, first 2 shown]
	v_lshl_add_u32 v50, v106, 3, v101
	ds_write2_b64 v50, v[48:49], v[58:59] offset1:1
	ds_write_b64 v50, v[54:55] offset:16
.LBB0_21:
	s_or_b64 exec, exec, s[4:5]
	s_waitcnt lgkmcnt(0)
	s_barrier
	ds_read2_b64 v[48:51], v99 offset1:54
	ds_read2_b64 v[60:63], v99 offset0:108 offset1:162
	v_add_u32_e32 v56, 0x400, v99
	ds_read2_b64 v[64:67], v56 offset0:88 offset1:142
	v_add_u32_e32 v52, 0x800, v99
	s_waitcnt lgkmcnt(2)
	v_mul_f32_e32 v53, v13, v51
	v_mul_f32_e32 v13, v13, v50
	ds_read2_b64 v[68:71], v52 offset0:68 offset1:122
	ds_read2_b64 v[104:107], v52 offset0:176 offset1:230
	v_fmac_f32_e32 v53, v12, v50
	v_fma_f32 v50, v12, v51, -v13
	s_waitcnt lgkmcnt(3)
	v_mul_f32_e32 v12, v15, v61
	v_mul_f32_e32 v13, v15, v60
	v_fmac_f32_e32 v12, v14, v60
	v_fma_f32 v13, v14, v61, -v13
	v_mul_f32_e32 v14, v9, v63
	v_mul_f32_e32 v9, v9, v62
	v_fmac_f32_e32 v14, v8, v62
	v_fma_f32 v8, v8, v63, -v9
	s_waitcnt lgkmcnt(2)
	v_mul_f32_e32 v9, v11, v65
	v_mul_f32_e32 v11, v11, v64
	v_fmac_f32_e32 v9, v10, v64
	v_fma_f32 v10, v10, v65, -v11
	v_mul_f32_e32 v11, v5, v67
	v_mul_f32_e32 v5, v5, v66
	;; [unrolled: 9-line block ×3, first 2 shown]
	v_fmac_f32_e32 v7, v0, v70
	v_fma_f32 v0, v0, v71, -v1
	s_waitcnt lgkmcnt(0)
	v_mul_f32_e32 v1, v3, v105
	v_mul_f32_e32 v3, v3, v104
	v_add_f32_e32 v57, v9, v5
	v_fmac_f32_e32 v1, v2, v104
	v_fma_f32 v2, v2, v105, -v3
	v_fma_f32 v57, -0.5, v57, v48
	v_sub_f32_e32 v60, v13, v2
	v_mov_b32_e32 v61, v57
	v_fmac_f32_e32 v61, 0xbf737871, v60
	v_sub_f32_e32 v62, v10, v6
	v_sub_f32_e32 v63, v12, v9
	;; [unrolled: 1-line block ×3, first 2 shown]
	v_fmac_f32_e32 v57, 0x3f737871, v60
	v_fmac_f32_e32 v61, 0xbf167918, v62
	v_add_f32_e32 v63, v63, v64
	v_fmac_f32_e32 v57, 0x3f167918, v62
	v_fmac_f32_e32 v61, 0x3e9e377a, v63
	v_fmac_f32_e32 v57, 0x3e9e377a, v63
	v_add_f32_e32 v63, v12, v1
	v_fma_f32 v63, -0.5, v63, v48
	v_mov_b32_e32 v64, v63
	v_add_f32_e32 v51, v48, v12
	v_fmac_f32_e32 v64, 0x3f737871, v62
	v_sub_f32_e32 v48, v9, v12
	v_sub_f32_e32 v65, v5, v1
	v_fmac_f32_e32 v63, 0xbf737871, v62
	v_fmac_f32_e32 v64, 0xbf167918, v60
	v_add_f32_e32 v48, v48, v65
	v_fmac_f32_e32 v63, 0x3f167918, v60
	v_fmac_f32_e32 v64, 0x3e9e377a, v48
	;; [unrolled: 1-line block ×3, first 2 shown]
	v_add_f32_e32 v48, v49, v13
	v_add_f32_e32 v48, v48, v10
	;; [unrolled: 1-line block ×7, first 2 shown]
	v_fma_f32 v62, -0.5, v48, v49
	v_add_f32_e32 v51, v51, v1
	v_sub_f32_e32 v1, v12, v1
	v_mov_b32_e32 v65, v62
	v_fmac_f32_e32 v65, 0x3f737871, v1
	v_sub_f32_e32 v5, v9, v5
	v_sub_f32_e32 v9, v13, v10
	;; [unrolled: 1-line block ×3, first 2 shown]
	v_fmac_f32_e32 v62, 0xbf737871, v1
	v_fmac_f32_e32 v65, 0x3f167918, v5
	v_add_f32_e32 v9, v9, v12
	v_fmac_f32_e32 v62, 0xbf167918, v5
	v_fmac_f32_e32 v65, 0x3e9e377a, v9
	;; [unrolled: 1-line block ×3, first 2 shown]
	v_add_f32_e32 v9, v13, v2
	v_fma_f32 v9, -0.5, v9, v49
	v_mov_b32_e32 v66, v9
	v_fmac_f32_e32 v66, 0xbf737871, v5
	v_sub_f32_e32 v10, v10, v13
	v_sub_f32_e32 v2, v6, v2
	v_fmac_f32_e32 v9, 0x3f737871, v5
	v_fmac_f32_e32 v66, 0x3f167918, v1
	v_add_f32_e32 v2, v10, v2
	v_fmac_f32_e32 v9, 0xbf167918, v1
	v_mul_f32_e32 v15, v94, v106
	v_fmac_f32_e32 v66, 0x3e9e377a, v2
	v_fmac_f32_e32 v9, 0x3e9e377a, v2
	v_add_f32_e32 v2, v11, v7
	v_mul_f32_e32 v3, v94, v107
	v_fma_f32 v15, v93, v107, -v15
	v_fma_f32 v2, -0.5, v2, v53
	v_fmac_f32_e32 v3, v93, v106
	v_sub_f32_e32 v5, v8, v15
	v_mov_b32_e32 v10, v2
	v_fmac_f32_e32 v10, 0xbf737871, v5
	v_sub_f32_e32 v6, v4, v0
	v_sub_f32_e32 v12, v14, v11
	;; [unrolled: 1-line block ×3, first 2 shown]
	v_fmac_f32_e32 v2, 0x3f737871, v5
	v_fmac_f32_e32 v10, 0xbf167918, v6
	v_add_f32_e32 v12, v12, v13
	v_fmac_f32_e32 v2, 0x3f167918, v6
	v_fmac_f32_e32 v10, 0x3e9e377a, v12
	v_fmac_f32_e32 v2, 0x3e9e377a, v12
	v_add_f32_e32 v12, v14, v3
	v_add_f32_e32 v1, v53, v14
	v_fmac_f32_e32 v53, -0.5, v12
	v_mov_b32_e32 v13, v53
	v_fmac_f32_e32 v13, 0x3f737871, v6
	v_fmac_f32_e32 v53, 0xbf737871, v6
	;; [unrolled: 1-line block ×4, first 2 shown]
	v_add_f32_e32 v5, v50, v8
	v_add_f32_e32 v5, v5, v4
	;; [unrolled: 1-line block ×7, first 2 shown]
	v_fma_f32 v49, -0.5, v5, v50
	v_add_f32_e32 v1, v1, v3
	v_sub_f32_e32 v48, v7, v3
	v_sub_f32_e32 v3, v14, v3
	v_mov_b32_e32 v68, v49
	v_fmac_f32_e32 v68, 0x3f737871, v3
	v_sub_f32_e32 v5, v11, v7
	v_sub_f32_e32 v6, v8, v4
	v_sub_f32_e32 v7, v15, v0
	v_fmac_f32_e32 v49, 0xbf737871, v3
	v_fmac_f32_e32 v68, 0x3f167918, v5
	v_add_f32_e32 v6, v6, v7
	v_fmac_f32_e32 v49, 0xbf167918, v5
	v_fmac_f32_e32 v68, 0x3e9e377a, v6
	;; [unrolled: 1-line block ×3, first 2 shown]
	v_add_f32_e32 v6, v8, v15
	v_fmac_f32_e32 v50, -0.5, v6
	v_sub_f32_e32 v12, v11, v14
	v_mov_b32_e32 v11, v50
	v_sub_f32_e32 v4, v4, v8
	v_sub_f32_e32 v0, v0, v15
	v_fmac_f32_e32 v50, 0x3f737871, v5
	v_fmac_f32_e32 v11, 0xbf737871, v5
	v_add_f32_e32 v0, v4, v0
	v_fmac_f32_e32 v50, 0xbf167918, v3
	v_add_f32_e32 v12, v12, v48
	v_fmac_f32_e32 v11, 0x3f167918, v3
	v_fmac_f32_e32 v50, 0x3e9e377a, v0
	;; [unrolled: 1-line block ×4, first 2 shown]
	v_mul_f32_e32 v8, 0xbf737871, v50
	v_mul_f32_e32 v70, 0xbe9e377a, v50
	v_fmac_f32_e32 v13, 0x3e9e377a, v12
	v_mul_f32_e32 v0, 0xbf167918, v68
	v_mul_f32_e32 v3, 0xbf737871, v11
	v_fmac_f32_e32 v8, 0xbe9e377a, v53
	v_mul_f32_e32 v69, 0xbf167918, v49
	v_mul_f32_e32 v68, 0x3f4f1bbd, v68
	;; [unrolled: 1-line block ×3, first 2 shown]
	v_fmac_f32_e32 v70, 0x3f737871, v53
	v_mul_f32_e32 v53, 0xbf4f1bbd, v49
	v_fmac_f32_e32 v0, 0x3f4f1bbd, v10
	v_fmac_f32_e32 v3, 0x3e9e377a, v13
	v_fmac_f32_e32 v69, 0xbf4f1bbd, v2
	v_fmac_f32_e32 v68, 0x3f167918, v10
	v_fmac_f32_e32 v11, 0x3f737871, v13
	v_fmac_f32_e32 v53, 0x3f167918, v2
	v_add_f32_e32 v4, v51, v1
	v_add_f32_e32 v6, v61, v0
	v_add_f32_e32 v12, v64, v3
	v_add_f32_e32 v14, v63, v8
	v_add_f32_e32 v48, v57, v69
	v_add_f32_e32 v5, v60, v67
	v_add_f32_e32 v7, v65, v68
	v_add_f32_e32 v13, v66, v11
	v_add_f32_e32 v15, v9, v70
	v_add_f32_e32 v49, v62, v53
	v_sub_f32_e32 v50, v51, v1
	v_sub_f32_e32 v51, v60, v67
	;; [unrolled: 1-line block ×10, first 2 shown]
	s_barrier
	ds_write2_b64 v108, v[4:5], v[6:7] offset1:3
	ds_write2_b64 v108, v[12:13], v[14:15] offset0:6 offset1:9
	ds_write2_b64 v108, v[48:49], v[50:51] offset0:12 offset1:15
	;; [unrolled: 1-line block ×4, first 2 shown]
	s_waitcnt lgkmcnt(0)
	s_barrier
	ds_read2_b64 v[4:7], v99 offset1:90
	ds_read2_b64 v[48:51], v56 offset0:52 offset1:142
	ds_read2_b64 v[12:15], v52 offset0:104 offset1:194
	s_and_saveexec_b64 s[4:5], s[2:3]
	s_cbranch_execz .LBB0_23
; %bb.22:
	ds_read2_b64 v[52:55], v52 offset0:158 offset1:248
	ds_read2_b64 v[0:3], v99 offset0:54 offset1:144
	;; [unrolled: 1-line block ×3, first 2 shown]
	s_waitcnt lgkmcnt(2)
	v_mov_b32_e32 v58, v52
	v_mov_b32_e32 v59, v53
.LBB0_23:
	s_or_b64 exec, exec, s[4:5]
	s_waitcnt lgkmcnt(2)
	v_mul_f32_e32 v52, v21, v7
	v_fmac_f32_e32 v52, v20, v6
	v_mul_f32_e32 v6, v21, v6
	v_fma_f32 v6, v20, v7, -v6
	s_waitcnt lgkmcnt(1)
	v_mul_f32_e32 v7, v23, v49
	v_mul_f32_e32 v20, v23, v48
	v_fmac_f32_e32 v7, v22, v48
	v_fma_f32 v20, v22, v49, -v20
	v_mul_f32_e32 v22, v29, v3
	v_mul_f32_e32 v21, v17, v51
	;; [unrolled: 1-line block ×3, first 2 shown]
	v_fmac_f32_e32 v22, v28, v2
	v_mul_f32_e32 v2, v29, v2
	v_fmac_f32_e32 v21, v16, v50
	v_fma_f32 v16, v16, v51, -v17
	s_waitcnt lgkmcnt(0)
	v_mul_f32_e32 v17, v19, v13
	v_fma_f32 v2, v28, v3, -v2
	v_mul_f32_e32 v3, v31, v9
	v_fmac_f32_e32 v17, v18, v12
	v_mul_f32_e32 v12, v19, v12
	v_fmac_f32_e32 v3, v30, v8
	v_mul_f32_e32 v8, v31, v8
	v_fma_f32 v12, v18, v13, -v12
	v_mul_f32_e32 v13, v96, v15
	v_fma_f32 v9, v30, v9, -v8
	v_mul_f32_e32 v8, v25, v10
	v_fmac_f32_e32 v13, v95, v14
	v_mul_f32_e32 v14, v96, v14
	v_fma_f32 v23, v24, v11, -v8
	v_mul_f32_e32 v8, v27, v58
	v_fma_f32 v14, v95, v15, -v14
	;; [unrolled: 2-line block ×3, first 2 shown]
	v_mul_f32_e32 v8, v98, v54
	v_add_f32_e32 v18, v7, v17
	v_fma_f32 v31, v97, v55, -v8
	v_add_f32_e32 v8, v4, v7
	v_fma_f32 v4, -0.5, v18, v4
	v_sub_f32_e32 v18, v20, v12
	v_mov_b32_e32 v25, v4
	v_fmac_f32_e32 v25, 0xbf5db3d7, v18
	v_fmac_f32_e32 v4, 0x3f5db3d7, v18
	v_add_f32_e32 v18, v5, v20
	v_fmac_f32_e32 v15, v24, v10
	v_mul_f32_e32 v10, v27, v59
	v_add_f32_e32 v27, v18, v12
	v_add_f32_e32 v12, v20, v12
	v_fma_f32 v5, -0.5, v12, v5
	v_add_f32_e32 v8, v8, v17
	v_sub_f32_e32 v7, v7, v17
	v_mov_b32_e32 v12, v5
	v_add_f32_e32 v17, v21, v13
	v_fmac_f32_e32 v12, 0x3f5db3d7, v7
	v_fmac_f32_e32 v5, 0xbf5db3d7, v7
	v_add_f32_e32 v7, v52, v21
	v_fmac_f32_e32 v52, -0.5, v17
	v_sub_f32_e32 v17, v16, v14
	v_mov_b32_e32 v19, v52
	v_fmac_f32_e32 v19, 0xbf5db3d7, v17
	v_fmac_f32_e32 v52, 0x3f5db3d7, v17
	v_add_f32_e32 v17, v6, v16
	v_add_f32_e32 v29, v17, v14
	;; [unrolled: 1-line block ×4, first 2 shown]
	v_fmac_f32_e32 v6, -0.5, v14
	v_sub_f32_e32 v13, v21, v13
	v_mov_b32_e32 v14, v6
	v_fmac_f32_e32 v6, 0xbf5db3d7, v13
	v_fmac_f32_e32 v14, 0x3f5db3d7, v13
	v_mul_f32_e32 v28, 0xbf5db3d7, v6
	v_mul_f32_e32 v13, 0xbf5db3d7, v14
	v_fmac_f32_e32 v28, -0.5, v52
	v_mul_f32_e32 v6, -0.5, v6
	v_fmac_f32_e32 v10, v26, v58
	v_fmac_f32_e32 v13, 0.5, v19
	v_add_f32_e32 v20, v4, v28
	v_fmac_f32_e32 v6, 0x3f5db3d7, v52
	v_sub_f32_e32 v28, v4, v28
	v_add_f32_e32 v4, v0, v3
	v_add_f32_e32 v18, v25, v13
	;; [unrolled: 1-line block ×4, first 2 shown]
	v_sub_f32_e32 v26, v25, v13
	v_sub_f32_e32 v25, v27, v29
	;; [unrolled: 1-line block ×3, first 2 shown]
	v_add_f32_e32 v6, v4, v10
	v_add_f32_e32 v4, v3, v10
	v_fmac_f32_e32 v0, -0.5, v4
	v_add_f32_e32 v16, v8, v7
	v_sub_f32_e32 v24, v8, v7
	v_sub_f32_e32 v4, v9, v11
	v_mov_b32_e32 v7, v0
	v_fmac_f32_e32 v7, 0xbf5db3d7, v4
	v_fmac_f32_e32 v0, 0x3f5db3d7, v4
	v_add_f32_e32 v4, v1, v9
	v_add_f32_e32 v8, v4, v11
	;; [unrolled: 1-line block ×3, first 2 shown]
	v_fmac_f32_e32 v1, -0.5, v4
	v_mul_f32_e32 v30, v98, v55
	v_sub_f32_e32 v3, v3, v10
	v_mov_b32_e32 v9, v1
	v_fmac_f32_e32 v30, v97, v54
	v_fmac_f32_e32 v9, 0x3f5db3d7, v3
	;; [unrolled: 1-line block ×3, first 2 shown]
	v_add_f32_e32 v3, v22, v15
	v_add_f32_e32 v10, v3, v30
	;; [unrolled: 1-line block ×3, first 2 shown]
	v_fmac_f32_e32 v22, -0.5, v3
	v_sub_f32_e32 v3, v23, v31
	v_mov_b32_e32 v4, v22
	v_fmac_f32_e32 v4, 0xbf5db3d7, v3
	v_fmac_f32_e32 v22, 0x3f5db3d7, v3
	v_add_f32_e32 v3, v2, v23
	v_add_f32_e32 v11, v3, v31
	;; [unrolled: 1-line block ×3, first 2 shown]
	v_fmac_f32_e32 v2, -0.5, v3
	v_mul_f32_e32 v14, 0.5, v14
	v_sub_f32_e32 v3, v15, v30
	v_mov_b32_e32 v5, v2
	v_fmac_f32_e32 v14, 0x3f5db3d7, v19
	v_fmac_f32_e32 v5, 0x3f5db3d7, v3
	;; [unrolled: 1-line block ×3, first 2 shown]
	v_add_f32_e32 v19, v12, v14
	v_sub_f32_e32 v27, v12, v14
	v_mul_f32_e32 v12, 0xbf5db3d7, v5
	v_mul_f32_e32 v13, 0xbf5db3d7, v2
	v_mul_f32_e32 v14, 0.5, v5
	v_mul_f32_e32 v15, -0.5, v2
	v_fmac_f32_e32 v12, 0.5, v4
	v_fmac_f32_e32 v13, -0.5, v22
	v_fmac_f32_e32 v14, 0x3f5db3d7, v4
	v_fmac_f32_e32 v15, 0x3f5db3d7, v22
	v_sub_f32_e32 v2, v6, v10
	v_sub_f32_e32 v4, v7, v12
	;; [unrolled: 1-line block ×6, first 2 shown]
	s_barrier
	ds_write2_b64 v110, v[16:17], v[18:19] offset1:30
	ds_write2_b64 v110, v[20:21], v[24:25] offset0:60 offset1:90
	ds_write2_b64 v110, v[26:27], v[28:29] offset0:120 offset1:150
	s_and_saveexec_b64 s[4:5], s[2:3]
	s_cbranch_execz .LBB0_25
; %bb.24:
	v_add_f32_e32 v10, v6, v10
	v_mul_u32_u24_e32 v6, 0xb4, v102
	v_add_u32_e32 v6, v6, v103
	v_add_f32_e32 v9, v9, v14
	v_add_f32_e32 v11, v8, v11
	;; [unrolled: 1-line block ×3, first 2 shown]
	v_lshl_add_u32 v6, v6, 3, v101
	v_add_f32_e32 v1, v1, v15
	v_add_f32_e32 v0, v0, v13
	ds_write2_b64 v6, v[10:11], v[8:9] offset1:30
	ds_write2_b64 v6, v[0:1], v[2:3] offset0:60 offset1:90
	ds_write2_b64 v6, v[4:5], v[22:23] offset0:120 offset1:150
.LBB0_25:
	s_or_b64 exec, exec, s[4:5]
	v_add_u32_e32 v0, 0x800, v99
	v_add_u32_e32 v25, 0x400, v99
	s_waitcnt lgkmcnt(0)
	s_barrier
	ds_read2_b64 v[10:13], v99 offset1:54
	ds_read2_b64 v[6:9], v99 offset0:108 offset1:180
	ds_read2_b64 v[18:21], v0 offset0:104 offset1:158
	;; [unrolled: 1-line block ×3, first 2 shown]
	ds_read_b64 v[0:1], v99 offset:3744
	v_add_u32_e32 v24, 0x360, v109
	s_and_saveexec_b64 s[2:3], s[0:1]
	s_cbranch_execz .LBB0_27
; %bb.26:
	ds_read2_b64 v[2:5], v25 offset0:34 offset1:214
	ds_read_b64 v[22:23], v99 offset:4176
.LBB0_27:
	s_or_b64 exec, exec, s[2:3]
	s_waitcnt lgkmcnt(3)
	v_mul_f32_e32 v26, v37, v9
	v_fmac_f32_e32 v26, v36, v8
	v_mul_f32_e32 v8, v37, v8
	v_fma_f32 v9, v36, v9, -v8
	s_waitcnt lgkmcnt(2)
	v_mul_f32_e32 v27, v39, v19
	v_mul_f32_e32 v8, v39, v18
	v_fmac_f32_e32 v27, v38, v18
	v_fma_f32 v18, v38, v19, -v8
	s_waitcnt lgkmcnt(1)
	v_mul_f32_e32 v8, v41, v14
	s_waitcnt lgkmcnt(0)
	v_mul_f32_e32 v31, v47, v1
	v_fma_f32 v28, v40, v15, -v8
	v_mul_f32_e32 v29, v43, v21
	v_mul_f32_e32 v8, v43, v20
	v_fmac_f32_e32 v31, v46, v0
	v_mul_f32_e32 v0, v47, v0
	v_fmac_f32_e32 v29, v42, v20
	v_fma_f32 v20, v42, v21, -v8
	v_mul_f32_e32 v8, v45, v16
	v_fma_f32 v36, v46, v1, -v0
	v_add_f32_e32 v1, v26, v27
	v_fma_f32 v30, v44, v17, -v8
	v_fma_f32 v8, -0.5, v1, v10
	v_add_f32_e32 v0, v10, v26
	v_sub_f32_e32 v1, v9, v18
	v_mov_b32_e32 v10, v8
	v_mul_f32_e32 v19, v41, v15
	v_fmac_f32_e32 v10, 0xbf5db3d7, v1
	v_fmac_f32_e32 v8, 0x3f5db3d7, v1
	v_add_f32_e32 v1, v11, v9
	v_add_f32_e32 v9, v9, v18
	v_fmac_f32_e32 v19, v40, v14
	v_fma_f32 v9, -0.5, v9, v11
	v_sub_f32_e32 v14, v26, v27
	v_mov_b32_e32 v11, v9
	v_add_f32_e32 v15, v19, v29
	v_mul_f32_e32 v21, v45, v17
	v_fmac_f32_e32 v11, 0x3f5db3d7, v14
	v_fmac_f32_e32 v9, 0xbf5db3d7, v14
	v_add_f32_e32 v14, v12, v19
	v_fma_f32 v12, -0.5, v15, v12
	v_fmac_f32_e32 v21, v44, v16
	v_sub_f32_e32 v15, v28, v20
	v_mov_b32_e32 v16, v12
	v_add_f32_e32 v17, v28, v20
	v_fmac_f32_e32 v16, 0xbf5db3d7, v15
	v_fmac_f32_e32 v12, 0x3f5db3d7, v15
	v_add_f32_e32 v15, v13, v28
	v_fmac_f32_e32 v13, -0.5, v17
	v_add_f32_e32 v1, v1, v18
	v_sub_f32_e32 v18, v19, v29
	v_mov_b32_e32 v17, v13
	v_add_f32_e32 v19, v21, v31
	v_fmac_f32_e32 v17, 0x3f5db3d7, v18
	v_fmac_f32_e32 v13, 0xbf5db3d7, v18
	v_add_f32_e32 v18, v6, v21
	v_fma_f32 v6, -0.5, v19, v6
	v_add_f32_e32 v15, v15, v20
	v_sub_f32_e32 v19, v30, v36
	v_mov_b32_e32 v20, v6
	v_add_f32_e32 v26, v30, v36
	v_fmac_f32_e32 v20, 0xbf5db3d7, v19
	v_fmac_f32_e32 v6, 0x3f5db3d7, v19
	v_add_f32_e32 v19, v7, v30
	v_fmac_f32_e32 v7, -0.5, v26
	v_add_f32_e32 v0, v0, v27
	v_add_f32_e32 v14, v14, v29
	v_sub_f32_e32 v26, v21, v31
	v_mov_b32_e32 v21, v7
	v_add_f32_e32 v18, v18, v31
	v_add_f32_e32 v19, v19, v36
	v_fmac_f32_e32 v21, 0x3f5db3d7, v26
	v_fmac_f32_e32 v7, 0xbf5db3d7, v26
	ds_write2_b64 v99, v[0:1], v[14:15] offset1:54
	ds_write2_b64 v25, v[16:17], v[8:9] offset0:106 offset1:232
	ds_write_b64 v99, v[12:13] offset:3312
	ds_write2_b64 v99, v[18:19], v[10:11] offset0:108 offset1:180
	v_add_u32_e32 v0, 0x400, v24
	ds_write2_b64 v0, v[20:21], v[6:7] offset0:52 offset1:232
	s_and_saveexec_b64 s[2:3], s[0:1]
	s_cbranch_execz .LBB0_29
; %bb.28:
	v_mul_f32_e32 v0, v33, v4
	v_fma_f32 v7, v32, v5, -v0
	v_mul_f32_e32 v0, v35, v22
	v_fma_f32 v8, v34, v23, -v0
	v_add_f32_e32 v0, v7, v8
	v_mul_f32_e32 v5, v33, v5
	v_mul_f32_e32 v9, v35, v23
	v_fma_f32 v1, -0.5, v0, v3
	v_fmac_f32_e32 v5, v32, v4
	v_fmac_f32_e32 v9, v34, v22
	v_sub_f32_e32 v0, v5, v9
	v_mov_b32_e32 v4, v1
	v_fmac_f32_e32 v4, 0xbf5db3d7, v0
	v_fmac_f32_e32 v1, 0x3f5db3d7, v0
	v_add_f32_e32 v0, v3, v7
	v_add_f32_e32 v6, v0, v8
	;; [unrolled: 1-line block ×3, first 2 shown]
	v_fma_f32 v0, -0.5, v0, v2
	v_sub_f32_e32 v7, v7, v8
	v_add_f32_e32 v2, v2, v5
	v_mov_b32_e32 v3, v0
	v_fmac_f32_e32 v0, 0xbf5db3d7, v7
	v_add_f32_e32 v5, v2, v9
	v_add_u32_e32 v2, 0x400, v99
	v_fmac_f32_e32 v3, 0x3f5db3d7, v7
	ds_write2_b64 v2, v[5:6], v[0:1] offset0:34 offset1:214
	ds_write_b64 v99, v[3:4] offset:4176
.LBB0_29:
	s_or_b64 exec, exec, s[2:3]
	v_mad_u64_u32 v[8:9], s[2:3], s10, v84, 0
	s_waitcnt lgkmcnt(0)
	s_barrier
	ds_read2_b64 v[0:3], v99 offset1:54
	v_mov_b32_e32 v4, v9
	v_mad_u64_u32 v[4:5], s[2:3], s11, v84, v[4:5]
	s_mov_b32 s2, 0xc901e574
	s_waitcnt lgkmcnt(0)
	v_mul_f32_e32 v5, v92, v1
	v_fmac_f32_e32 v5, v91, v0
	v_cvt_f64_f32_e32 v[5:6], v5
	s_mov_b32 s3, 0x3f5e573a
	v_mul_f32_e32 v0, v92, v0
	v_fma_f32 v0, v91, v1, -v0
	v_mul_f64 v[5:6], v[5:6], s[2:3]
	v_cvt_f64_f32_e32 v[0:1], v0
	v_mad_u64_u32 v[10:11], s[4:5], s8, v100, 0
	v_mov_b32_e32 v9, v4
	v_mul_f64 v[0:1], v[0:1], s[2:3]
	v_mov_b32_e32 v4, v11
	v_mov_b32_e32 v14, s13
	v_mad_u64_u32 v[11:12], s[4:5], s9, v100, v[4:5]
	v_cvt_f32_f64_e32 v12, v[5:6]
	ds_read2_b64 v[4:7], v99 offset0:108 offset1:180
	s_mul_i32 s4, s9, 0xb4
	v_cvt_f32_f64_e32 v13, v[0:1]
	v_lshlrev_b64 v[0:1], 3, v[8:9]
	s_mul_hi_u32 s5, s8, 0xb4
	s_waitcnt lgkmcnt(0)
	v_mul_f32_e32 v8, v90, v7
	v_fmac_f32_e32 v8, v89, v6
	v_mul_f32_e32 v6, v90, v6
	v_fma_f32 v6, v89, v7, -v6
	v_cvt_f64_f32_e32 v[8:9], v8
	v_cvt_f64_f32_e32 v[6:7], v6
	v_add_co_u32_e32 v15, vcc, s12, v0
	v_addc_co_u32_e32 v14, vcc, v14, v1, vcc
	v_mul_f64 v[0:1], v[8:9], s[2:3]
	v_mul_f64 v[6:7], v[6:7], s[2:3]
	v_lshlrev_b64 v[8:9], 3, v[10:11]
	s_add_i32 s5, s5, s4
	v_add_co_u32_e32 v10, vcc, v15, v8
	v_addc_co_u32_e32 v11, vcc, v14, v9, vcc
	v_cvt_f32_f64_e32 v0, v[0:1]
	v_cvt_f32_f64_e32 v1, v[6:7]
	v_add_u32_e32 v6, 0x800, v99
	ds_read2_b64 v[6:9], v6 offset0:104 offset1:158
	global_store_dwordx2 v[10:11], v[12:13], off
	v_mul_f32_e32 v14, v88, v3
	v_fmac_f32_e32 v14, v87, v2
	v_mul_f32_e32 v2, v88, v2
	s_waitcnt lgkmcnt(0)
	v_mul_f32_e32 v12, v86, v7
	v_fmac_f32_e32 v12, v85, v6
	v_cvt_f64_f32_e32 v[12:13], v12
	v_mul_f32_e32 v6, v86, v6
	v_fma_f32 v6, v85, v7, -v6
	v_cvt_f64_f32_e32 v[6:7], v6
	v_mul_f64 v[12:13], v[12:13], s[2:3]
	v_fma_f32 v2, v87, v3, -v2
	v_cvt_f64_f32_e32 v[2:3], v2
	v_mul_f64 v[6:7], v[6:7], s[2:3]
	s_mul_i32 s4, s8, 0xb4
	v_cvt_f64_f32_e32 v[14:15], v14
	s_lshl_b64 s[4:5], s[4:5], 3
	v_mov_b32_e32 v16, s5
	v_add_co_u32_e32 v10, vcc, s4, v10
	v_addc_co_u32_e32 v11, vcc, v11, v16, vcc
	v_mul_f64 v[2:3], v[2:3], s[2:3]
	global_store_dwordx2 v[10:11], v[0:1], off
	v_cvt_f32_f64_e32 v0, v[12:13]
	v_mul_f64 v[12:13], v[14:15], s[2:3]
	v_cvt_f32_f64_e32 v1, v[6:7]
	v_add_co_u32_e32 v6, vcc, s4, v10
	v_addc_co_u32_e32 v7, vcc, v11, v16, vcc
	global_store_dwordx2 v[6:7], v[0:1], off
	v_cvt_f32_f64_e32 v1, v[2:3]
	v_add_u32_e32 v2, 0x400, v99
	v_cvt_f32_f64_e32 v0, v[12:13]
	ds_read2_b64 v[10:13], v2 offset0:106 offset1:160
	s_mul_hi_u32 s7, s8, 0xfffffece
	s_mul_i32 s6, s9, 0xfffffece
	s_sub_i32 s7, s7, s8
	s_add_i32 s7, s7, s6
	s_waitcnt lgkmcnt(0)
	v_mul_f32_e32 v3, v83, v11
	v_fmac_f32_e32 v3, v82, v10
	v_cvt_f64_f32_e32 v[14:15], v3
	v_mul_f32_e32 v3, v83, v10
	v_fma_f32 v3, v82, v11, -v3
	v_cvt_f64_f32_e32 v[10:11], v3
	s_mul_i32 s6, s8, 0xfffffece
	v_mul_f64 v[14:15], v[14:15], s[2:3]
	s_lshl_b64 s[6:7], s[6:7], 3
	v_mul_f64 v[10:11], v[10:11], s[2:3]
	v_mov_b32_e32 v17, s7
	v_add_co_u32_e32 v6, vcc, s6, v6
	v_mul_f32_e32 v3, v81, v9
	v_addc_co_u32_e32 v7, vcc, v7, v17, vcc
	v_fmac_f32_e32 v3, v80, v8
	global_store_dwordx2 v[6:7], v[0:1], off
	v_cvt_f32_f64_e32 v1, v[10:11]
	v_cvt_f64_f32_e32 v[10:11], v3
	v_mul_f32_e32 v3, v81, v8
	v_fma_f32 v3, v80, v9, -v3
	v_cvt_f64_f32_e32 v[8:9], v3
	v_mul_f32_e32 v3, v79, v5
	v_fmac_f32_e32 v3, v78, v4
	v_cvt_f32_f64_e32 v0, v[14:15]
	v_mul_f64 v[10:11], v[10:11], s[2:3]
	v_cvt_f64_f32_e32 v[14:15], v3
	v_mul_f32_e32 v3, v79, v4
	v_fma_f32 v3, v78, v5, -v3
	v_mul_f64 v[8:9], v[8:9], s[2:3]
	v_cvt_f64_f32_e32 v[3:4], v3
	v_add_co_u32_e32 v6, vcc, s4, v6
	v_addc_co_u32_e32 v7, vcc, v7, v16, vcc
	v_mul_f64 v[3:4], v[3:4], s[2:3]
	global_store_dwordx2 v[6:7], v[0:1], off
	v_cvt_f32_f64_e32 v0, v[10:11]
	v_mul_f64 v[10:11], v[14:15], s[2:3]
	v_cvt_f32_f64_e32 v1, v[8:9]
	v_add_co_u32_e32 v5, vcc, s4, v6
	v_addc_co_u32_e32 v6, vcc, v7, v16, vcc
	global_store_dwordx2 v[5:6], v[0:1], off
	v_cvt_f32_f64_e32 v1, v[3:4]
	v_mul_f32_e32 v3, v77, v13
	v_fmac_f32_e32 v3, v76, v12
	v_cvt_f32_f64_e32 v0, v[10:11]
	v_cvt_f64_f32_e32 v[3:4], v3
	ds_read_b64 v[9:10], v99 offset:3744
	v_mul_f32_e32 v7, v77, v12
	v_fma_f32 v7, v76, v13, -v7
	v_mul_f64 v[3:4], v[3:4], s[2:3]
	v_cvt_f64_f32_e32 v[7:8], v7
	s_waitcnt lgkmcnt(0)
	v_mul_f32_e32 v11, v75, v10
	v_fmac_f32_e32 v11, v74, v9
	v_mul_f32_e32 v9, v75, v9
	v_fma_f32 v9, v74, v10, -v9
	v_cvt_f64_f32_e32 v[11:12], v11
	v_cvt_f64_f32_e32 v[9:10], v9
	v_add_co_u32_e32 v5, vcc, s6, v5
	v_mul_f64 v[7:8], v[7:8], s[2:3]
	v_addc_co_u32_e32 v6, vcc, v6, v17, vcc
	global_store_dwordx2 v[5:6], v[0:1], off
	v_cvt_f32_f64_e32 v0, v[3:4]
	v_mul_f64 v[3:4], v[11:12], s[2:3]
	v_mul_f64 v[9:10], v[9:10], s[2:3]
	v_add_co_u32_e32 v5, vcc, s4, v5
	v_cvt_f32_f64_e32 v1, v[7:8]
	v_addc_co_u32_e32 v6, vcc, v6, v16, vcc
	v_cvt_f32_f64_e32 v3, v[3:4]
	v_cvt_f32_f64_e32 v4, v[9:10]
	global_store_dwordx2 v[5:6], v[0:1], off
	v_add_co_u32_e32 v0, vcc, s4, v5
	v_addc_co_u32_e32 v1, vcc, v6, v16, vcc
	global_store_dwordx2 v[0:1], v[3:4], off
	s_and_b64 exec, exec, s[0:1]
	s_cbranch_execz .LBB0_31
; %bb.30:
	s_movk_i32 s0, 0x1000
	v_add_co_u32_e32 v3, vcc, s0, v72
	global_load_dwordx2 v[6:7], v[72:73], off offset:1296
	global_load_dwordx2 v[8:9], v[72:73], off offset:2736
	v_addc_co_u32_e32 v4, vcc, 0, v73, vcc
	global_load_dwordx2 v[10:11], v[3:4], off offset:80
	ds_read2_b64 v[2:5], v2 offset0:34 offset1:214
	ds_read_b64 v[12:13], v99 offset:4176
	v_mov_b32_e32 v14, s7
	v_add_co_u32_e32 v0, vcc, s6, v0
	v_addc_co_u32_e32 v1, vcc, v1, v14, vcc
	v_mov_b32_e32 v16, s5
	s_waitcnt vmcnt(2) lgkmcnt(1)
	v_mul_f32_e32 v14, v3, v7
	v_mul_f32_e32 v7, v2, v7
	s_waitcnt vmcnt(1)
	v_mul_f32_e32 v15, v5, v9
	v_mul_f32_e32 v9, v4, v9
	v_fmac_f32_e32 v14, v2, v6
	v_fma_f32 v6, v6, v3, -v7
	v_fmac_f32_e32 v15, v4, v8
	v_fma_f32 v8, v8, v5, -v9
	v_cvt_f64_f32_e32 v[2:3], v14
	v_cvt_f64_f32_e32 v[4:5], v6
	s_waitcnt vmcnt(0) lgkmcnt(0)
	v_mul_f32_e32 v14, v13, v11
	v_mul_f32_e32 v11, v12, v11
	v_cvt_f64_f32_e32 v[6:7], v15
	v_cvt_f64_f32_e32 v[8:9], v8
	v_fmac_f32_e32 v14, v12, v10
	v_fma_f32 v12, v10, v13, -v11
	v_cvt_f64_f32_e32 v[10:11], v14
	v_cvt_f64_f32_e32 v[12:13], v12
	v_mul_f64 v[2:3], v[2:3], s[2:3]
	v_mul_f64 v[4:5], v[4:5], s[2:3]
	;; [unrolled: 1-line block ×6, first 2 shown]
	v_add_co_u32_e32 v14, vcc, s4, v0
	v_cvt_f32_f64_e32 v2, v[2:3]
	v_cvt_f32_f64_e32 v3, v[4:5]
	;; [unrolled: 1-line block ×6, first 2 shown]
	v_addc_co_u32_e32 v15, vcc, v1, v16, vcc
	global_store_dwordx2 v[0:1], v[2:3], off
	global_store_dwordx2 v[14:15], v[4:5], off
	v_add_co_u32_e32 v0, vcc, s4, v14
	v_addc_co_u32_e32 v1, vcc, v15, v16, vcc
	global_store_dwordx2 v[0:1], v[6:7], off
.LBB0_31:
	s_endpgm
	.section	.rodata,"a",@progbits
	.p2align	6, 0x0
	.amdhsa_kernel bluestein_single_fwd_len540_dim1_sp_op_CI_CI
		.amdhsa_group_segment_fixed_size 17280
		.amdhsa_private_segment_fixed_size 0
		.amdhsa_kernarg_size 104
		.amdhsa_user_sgpr_count 6
		.amdhsa_user_sgpr_private_segment_buffer 1
		.amdhsa_user_sgpr_dispatch_ptr 0
		.amdhsa_user_sgpr_queue_ptr 0
		.amdhsa_user_sgpr_kernarg_segment_ptr 1
		.amdhsa_user_sgpr_dispatch_id 0
		.amdhsa_user_sgpr_flat_scratch_init 0
		.amdhsa_user_sgpr_private_segment_size 0
		.amdhsa_uses_dynamic_stack 0
		.amdhsa_system_sgpr_private_segment_wavefront_offset 0
		.amdhsa_system_sgpr_workgroup_id_x 1
		.amdhsa_system_sgpr_workgroup_id_y 0
		.amdhsa_system_sgpr_workgroup_id_z 0
		.amdhsa_system_sgpr_workgroup_info 0
		.amdhsa_system_vgpr_workitem_id 0
		.amdhsa_next_free_vgpr 123
		.amdhsa_next_free_sgpr 20
		.amdhsa_reserve_vcc 1
		.amdhsa_reserve_flat_scratch 0
		.amdhsa_float_round_mode_32 0
		.amdhsa_float_round_mode_16_64 0
		.amdhsa_float_denorm_mode_32 3
		.amdhsa_float_denorm_mode_16_64 3
		.amdhsa_dx10_clamp 1
		.amdhsa_ieee_mode 1
		.amdhsa_fp16_overflow 0
		.amdhsa_exception_fp_ieee_invalid_op 0
		.amdhsa_exception_fp_denorm_src 0
		.amdhsa_exception_fp_ieee_div_zero 0
		.amdhsa_exception_fp_ieee_overflow 0
		.amdhsa_exception_fp_ieee_underflow 0
		.amdhsa_exception_fp_ieee_inexact 0
		.amdhsa_exception_int_div_zero 0
	.end_amdhsa_kernel
	.text
.Lfunc_end0:
	.size	bluestein_single_fwd_len540_dim1_sp_op_CI_CI, .Lfunc_end0-bluestein_single_fwd_len540_dim1_sp_op_CI_CI
                                        ; -- End function
	.section	.AMDGPU.csdata,"",@progbits
; Kernel info:
; codeLenInByte = 9848
; NumSgprs: 24
; NumVgprs: 123
; ScratchSize: 0
; MemoryBound: 0
; FloatMode: 240
; IeeeMode: 1
; LDSByteSize: 17280 bytes/workgroup (compile time only)
; SGPRBlocks: 2
; VGPRBlocks: 30
; NumSGPRsForWavesPerEU: 24
; NumVGPRsForWavesPerEU: 123
; Occupancy: 2
; WaveLimiterHint : 1
; COMPUTE_PGM_RSRC2:SCRATCH_EN: 0
; COMPUTE_PGM_RSRC2:USER_SGPR: 6
; COMPUTE_PGM_RSRC2:TRAP_HANDLER: 0
; COMPUTE_PGM_RSRC2:TGID_X_EN: 1
; COMPUTE_PGM_RSRC2:TGID_Y_EN: 0
; COMPUTE_PGM_RSRC2:TGID_Z_EN: 0
; COMPUTE_PGM_RSRC2:TIDIG_COMP_CNT: 0
	.type	__hip_cuid_7e0a96844b35cf8c,@object ; @__hip_cuid_7e0a96844b35cf8c
	.section	.bss,"aw",@nobits
	.globl	__hip_cuid_7e0a96844b35cf8c
__hip_cuid_7e0a96844b35cf8c:
	.byte	0                               ; 0x0
	.size	__hip_cuid_7e0a96844b35cf8c, 1

	.ident	"AMD clang version 19.0.0git (https://github.com/RadeonOpenCompute/llvm-project roc-6.4.0 25133 c7fe45cf4b819c5991fe208aaa96edf142730f1d)"
	.section	".note.GNU-stack","",@progbits
	.addrsig
	.addrsig_sym __hip_cuid_7e0a96844b35cf8c
	.amdgpu_metadata
---
amdhsa.kernels:
  - .args:
      - .actual_access:  read_only
        .address_space:  global
        .offset:         0
        .size:           8
        .value_kind:     global_buffer
      - .actual_access:  read_only
        .address_space:  global
        .offset:         8
        .size:           8
        .value_kind:     global_buffer
      - .actual_access:  read_only
        .address_space:  global
        .offset:         16
        .size:           8
        .value_kind:     global_buffer
      - .actual_access:  read_only
        .address_space:  global
        .offset:         24
        .size:           8
        .value_kind:     global_buffer
      - .actual_access:  read_only
        .address_space:  global
        .offset:         32
        .size:           8
        .value_kind:     global_buffer
      - .offset:         40
        .size:           8
        .value_kind:     by_value
      - .address_space:  global
        .offset:         48
        .size:           8
        .value_kind:     global_buffer
      - .address_space:  global
        .offset:         56
        .size:           8
        .value_kind:     global_buffer
      - .address_space:  global
        .offset:         64
        .size:           8
        .value_kind:     global_buffer
      - .address_space:  global
        .offset:         72
        .size:           8
        .value_kind:     global_buffer
      - .offset:         80
        .size:           4
        .value_kind:     by_value
      - .address_space:  global
        .offset:         88
        .size:           8
        .value_kind:     global_buffer
      - .address_space:  global
        .offset:         96
        .size:           8
        .value_kind:     global_buffer
    .group_segment_fixed_size: 17280
    .kernarg_segment_align: 8
    .kernarg_segment_size: 104
    .language:       OpenCL C
    .language_version:
      - 2
      - 0
    .max_flat_workgroup_size: 216
    .name:           bluestein_single_fwd_len540_dim1_sp_op_CI_CI
    .private_segment_fixed_size: 0
    .sgpr_count:     24
    .sgpr_spill_count: 0
    .symbol:         bluestein_single_fwd_len540_dim1_sp_op_CI_CI.kd
    .uniform_work_group_size: 1
    .uses_dynamic_stack: false
    .vgpr_count:     123
    .vgpr_spill_count: 0
    .wavefront_size: 64
amdhsa.target:   amdgcn-amd-amdhsa--gfx906
amdhsa.version:
  - 1
  - 2
...

	.end_amdgpu_metadata
